;; amdgpu-corpus repo=ROCm/vllm kind=compiled arch=gfx906 opt=O3
	.amdgcn_target "amdgcn-amd-amdhsa--gfx906"
	.amdhsa_code_object_version 6
	.section	.text._ZN4vllm18copy_blocks_kernelIfEEvPlS1_PKli,"axG",@progbits,_ZN4vllm18copy_blocks_kernelIfEEvPlS1_PKli,comdat
	.protected	_ZN4vllm18copy_blocks_kernelIfEEvPlS1_PKli ; -- Begin function _ZN4vllm18copy_blocks_kernelIfEEvPlS1_PKli
	.globl	_ZN4vllm18copy_blocks_kernelIfEEvPlS1_PKli
	.p2align	8
	.type	_ZN4vllm18copy_blocks_kernelIfEEvPlS1_PKli,@function
_ZN4vllm18copy_blocks_kernelIfEEvPlS1_PKli: ; @_ZN4vllm18copy_blocks_kernelIfEEvPlS1_PKli
; %bb.0:
	s_load_dword s8, s[4:5], 0x18
	s_waitcnt lgkmcnt(0)
	v_cmp_gt_i32_e32 vcc, s8, v0
	s_and_saveexec_b64 s[2:3], vcc
	s_cbranch_execz .LBB0_5
; %bb.1:
	s_load_dwordx4 s[12:15], s[4:5], 0x0
	s_load_dwordx2 s[2:3], s[4:5], 0x10
	s_mov_b32 s0, s7
	s_ashr_i32 s7, s6, 31
	s_lshl_b64 s[6:7], s[6:7], 3
	s_waitcnt lgkmcnt(0)
	s_add_u32 s10, s14, s6
	s_addc_u32 s11, s15, s7
	s_lshl_b32 s0, s0, 1
	s_ashr_i32 s1, s0, 31
	s_lshl_b64 s[0:1], s[0:1], 3
	s_add_u32 s0, s2, s0
	s_addc_u32 s1, s3, s1
	s_load_dwordx4 s[16:19], s[0:1], 0x0
	s_ashr_i32 s0, s8, 31
	v_mov_b32_e32 v1, v0
	s_waitcnt lgkmcnt(0)
	s_mul_i32 s1, s16, s0
	s_mul_hi_u32 s2, s16, s8
	s_mul_i32 s3, s17, s8
	s_add_i32 s1, s2, s1
	s_mul_i32 s0, s18, s0
	s_add_i32 s3, s1, s3
	s_mul_hi_u32 s1, s18, s8
	s_add_i32 s0, s1, s0
	s_mul_i32 s1, s19, s8
	s_add_i32 s15, s0, s1
	s_add_u32 s6, s12, s6
	s_addc_u32 s7, s13, s7
	s_load_dwordx2 s[12:13], s[6:7], 0x0
	s_load_dwordx2 s[0:1], s[10:11], 0x0
	s_mul_i32 s2, s16, s8
	s_lshl_b64 s[2:3], s[2:3], 2
	s_load_dword s6, s[4:5], 0x2c
	s_mul_i32 s14, s18, s8
	s_waitcnt lgkmcnt(0)
	s_add_u32 s10, s12, s2
	s_addc_u32 s16, s13, s3
	s_lshl_b64 s[4:5], s[14:15], 2
	s_add_u32 s11, s12, s4
	s_addc_u32 s12, s13, s5
	s_and_b32 s9, s6, 0xffff
	s_mov_b64 s[6:7], 0
	v_mov_b32_e32 v3, s16
	v_mov_b32_e32 v4, s12
.LBB0_2:                                ; =>This Inner Loop Header: Depth=1
	v_ashrrev_i32_e32 v2, 31, v1
	v_lshlrev_b64 v[5:6], 2, v[1:2]
	v_add_u32_e32 v1, s9, v1
	v_add_co_u32_e32 v7, vcc, s10, v5
	v_addc_co_u32_e32 v8, vcc, v3, v6, vcc
	flat_load_dword v2, v[7:8]
	v_add_co_u32_e32 v5, vcc, s11, v5
	v_addc_co_u32_e32 v6, vcc, v4, v6, vcc
	v_cmp_le_i32_e32 vcc, s8, v1
	s_or_b64 s[6:7], vcc, s[6:7]
	s_waitcnt vmcnt(0) lgkmcnt(0)
	flat_store_dword v[5:6], v2
	s_andn2_b64 exec, exec, s[6:7]
	s_cbranch_execnz .LBB0_2
; %bb.3:
	s_or_b64 exec, exec, s[6:7]
	s_add_u32 s2, s0, s2
	s_addc_u32 s6, s1, s3
	s_add_u32 s3, s0, s4
	s_addc_u32 s4, s1, s5
	s_mov_b64 s[0:1], 0
	v_mov_b32_e32 v2, s6
	v_mov_b32_e32 v3, s4
.LBB0_4:                                ; =>This Inner Loop Header: Depth=1
	v_ashrrev_i32_e32 v1, 31, v0
	v_lshlrev_b64 v[4:5], 2, v[0:1]
	v_add_u32_e32 v0, s9, v0
	v_add_co_u32_e32 v6, vcc, s2, v4
	v_addc_co_u32_e32 v7, vcc, v2, v5, vcc
	flat_load_dword v1, v[6:7]
	v_add_co_u32_e32 v4, vcc, s3, v4
	v_addc_co_u32_e32 v5, vcc, v3, v5, vcc
	v_cmp_le_i32_e32 vcc, s8, v0
	s_or_b64 s[0:1], vcc, s[0:1]
	s_waitcnt vmcnt(0) lgkmcnt(0)
	flat_store_dword v[4:5], v1
	s_andn2_b64 exec, exec, s[0:1]
	s_cbranch_execnz .LBB0_4
.LBB0_5:
	s_endpgm
	.section	.rodata,"a",@progbits
	.p2align	6, 0x0
	.amdhsa_kernel _ZN4vllm18copy_blocks_kernelIfEEvPlS1_PKli
		.amdhsa_group_segment_fixed_size 0
		.amdhsa_private_segment_fixed_size 0
		.amdhsa_kernarg_size 288
		.amdhsa_user_sgpr_count 6
		.amdhsa_user_sgpr_private_segment_buffer 1
		.amdhsa_user_sgpr_dispatch_ptr 0
		.amdhsa_user_sgpr_queue_ptr 0
		.amdhsa_user_sgpr_kernarg_segment_ptr 1
		.amdhsa_user_sgpr_dispatch_id 0
		.amdhsa_user_sgpr_flat_scratch_init 0
		.amdhsa_user_sgpr_private_segment_size 0
		.amdhsa_uses_dynamic_stack 0
		.amdhsa_system_sgpr_private_segment_wavefront_offset 0
		.amdhsa_system_sgpr_workgroup_id_x 1
		.amdhsa_system_sgpr_workgroup_id_y 1
		.amdhsa_system_sgpr_workgroup_id_z 0
		.amdhsa_system_sgpr_workgroup_info 0
		.amdhsa_system_vgpr_workitem_id 0
		.amdhsa_next_free_vgpr 9
		.amdhsa_next_free_sgpr 20
		.amdhsa_reserve_vcc 1
		.amdhsa_reserve_flat_scratch 0
		.amdhsa_float_round_mode_32 0
		.amdhsa_float_round_mode_16_64 0
		.amdhsa_float_denorm_mode_32 3
		.amdhsa_float_denorm_mode_16_64 3
		.amdhsa_dx10_clamp 1
		.amdhsa_ieee_mode 1
		.amdhsa_fp16_overflow 0
		.amdhsa_exception_fp_ieee_invalid_op 0
		.amdhsa_exception_fp_denorm_src 0
		.amdhsa_exception_fp_ieee_div_zero 0
		.amdhsa_exception_fp_ieee_overflow 0
		.amdhsa_exception_fp_ieee_underflow 0
		.amdhsa_exception_fp_ieee_inexact 0
		.amdhsa_exception_int_div_zero 0
	.end_amdhsa_kernel
	.section	.text._ZN4vllm18copy_blocks_kernelIfEEvPlS1_PKli,"axG",@progbits,_ZN4vllm18copy_blocks_kernelIfEEvPlS1_PKli,comdat
.Lfunc_end0:
	.size	_ZN4vllm18copy_blocks_kernelIfEEvPlS1_PKli, .Lfunc_end0-_ZN4vllm18copy_blocks_kernelIfEEvPlS1_PKli
                                        ; -- End function
	.set _ZN4vllm18copy_blocks_kernelIfEEvPlS1_PKli.num_vgpr, 9
	.set _ZN4vllm18copy_blocks_kernelIfEEvPlS1_PKli.num_agpr, 0
	.set _ZN4vllm18copy_blocks_kernelIfEEvPlS1_PKli.numbered_sgpr, 20
	.set _ZN4vllm18copy_blocks_kernelIfEEvPlS1_PKli.num_named_barrier, 0
	.set _ZN4vllm18copy_blocks_kernelIfEEvPlS1_PKli.private_seg_size, 0
	.set _ZN4vllm18copy_blocks_kernelIfEEvPlS1_PKli.uses_vcc, 1
	.set _ZN4vllm18copy_blocks_kernelIfEEvPlS1_PKli.uses_flat_scratch, 0
	.set _ZN4vllm18copy_blocks_kernelIfEEvPlS1_PKli.has_dyn_sized_stack, 0
	.set _ZN4vllm18copy_blocks_kernelIfEEvPlS1_PKli.has_recursion, 0
	.set _ZN4vllm18copy_blocks_kernelIfEEvPlS1_PKli.has_indirect_call, 0
	.section	.AMDGPU.csdata,"",@progbits
; Kernel info:
; codeLenInByte = 404
; TotalNumSgprs: 24
; NumVgprs: 9
; ScratchSize: 0
; MemoryBound: 0
; FloatMode: 240
; IeeeMode: 1
; LDSByteSize: 0 bytes/workgroup (compile time only)
; SGPRBlocks: 2
; VGPRBlocks: 2
; NumSGPRsForWavesPerEU: 24
; NumVGPRsForWavesPerEU: 9
; Occupancy: 10
; WaveLimiterHint : 1
; COMPUTE_PGM_RSRC2:SCRATCH_EN: 0
; COMPUTE_PGM_RSRC2:USER_SGPR: 6
; COMPUTE_PGM_RSRC2:TRAP_HANDLER: 0
; COMPUTE_PGM_RSRC2:TGID_X_EN: 1
; COMPUTE_PGM_RSRC2:TGID_Y_EN: 1
; COMPUTE_PGM_RSRC2:TGID_Z_EN: 0
; COMPUTE_PGM_RSRC2:TIDIG_COMP_CNT: 0
	.section	.text._ZN4vllm18copy_blocks_kernelIN3c104HalfEEEvPlS3_PKli,"axG",@progbits,_ZN4vllm18copy_blocks_kernelIN3c104HalfEEEvPlS3_PKli,comdat
	.protected	_ZN4vllm18copy_blocks_kernelIN3c104HalfEEEvPlS3_PKli ; -- Begin function _ZN4vllm18copy_blocks_kernelIN3c104HalfEEEvPlS3_PKli
	.globl	_ZN4vllm18copy_blocks_kernelIN3c104HalfEEEvPlS3_PKli
	.p2align	8
	.type	_ZN4vllm18copy_blocks_kernelIN3c104HalfEEEvPlS3_PKli,@function
_ZN4vllm18copy_blocks_kernelIN3c104HalfEEEvPlS3_PKli: ; @_ZN4vllm18copy_blocks_kernelIN3c104HalfEEEvPlS3_PKli
; %bb.0:
	s_load_dword s8, s[4:5], 0x18
	s_waitcnt lgkmcnt(0)
	v_cmp_gt_i32_e32 vcc, s8, v0
	s_and_saveexec_b64 s[2:3], vcc
	s_cbranch_execz .LBB1_5
; %bb.1:
	s_load_dwordx4 s[12:15], s[4:5], 0x0
	s_load_dwordx2 s[2:3], s[4:5], 0x10
	s_mov_b32 s0, s7
	s_ashr_i32 s7, s6, 31
	s_lshl_b64 s[6:7], s[6:7], 3
	s_waitcnt lgkmcnt(0)
	s_add_u32 s10, s14, s6
	s_addc_u32 s11, s15, s7
	s_lshl_b32 s0, s0, 1
	s_ashr_i32 s1, s0, 31
	s_lshl_b64 s[0:1], s[0:1], 3
	s_add_u32 s0, s2, s0
	s_addc_u32 s1, s3, s1
	s_load_dwordx4 s[16:19], s[0:1], 0x0
	s_ashr_i32 s0, s8, 31
	v_mov_b32_e32 v1, v0
	s_waitcnt lgkmcnt(0)
	s_mul_i32 s1, s16, s0
	s_mul_hi_u32 s2, s16, s8
	s_mul_i32 s3, s17, s8
	s_add_i32 s1, s2, s1
	s_mul_i32 s0, s18, s0
	s_add_i32 s3, s1, s3
	s_mul_hi_u32 s1, s18, s8
	s_add_i32 s0, s1, s0
	s_mul_i32 s1, s19, s8
	s_add_i32 s15, s0, s1
	s_add_u32 s6, s12, s6
	s_addc_u32 s7, s13, s7
	s_load_dwordx2 s[12:13], s[6:7], 0x0
	s_load_dwordx2 s[0:1], s[10:11], 0x0
	s_mul_i32 s2, s16, s8
	s_lshl_b64 s[2:3], s[2:3], 1
	s_load_dword s6, s[4:5], 0x2c
	s_mul_i32 s14, s18, s8
	s_waitcnt lgkmcnt(0)
	s_add_u32 s10, s12, s2
	s_addc_u32 s16, s13, s3
	s_lshl_b64 s[4:5], s[14:15], 1
	s_add_u32 s11, s12, s4
	s_addc_u32 s12, s13, s5
	s_and_b32 s9, s6, 0xffff
	s_mov_b64 s[6:7], 0
	v_mov_b32_e32 v3, s16
	v_mov_b32_e32 v4, s12
.LBB1_2:                                ; =>This Inner Loop Header: Depth=1
	v_ashrrev_i32_e32 v2, 31, v1
	v_lshlrev_b64 v[5:6], 1, v[1:2]
	v_add_u32_e32 v1, s9, v1
	v_add_co_u32_e32 v7, vcc, s10, v5
	v_addc_co_u32_e32 v8, vcc, v3, v6, vcc
	flat_load_ushort v2, v[7:8]
	v_add_co_u32_e32 v5, vcc, s11, v5
	v_addc_co_u32_e32 v6, vcc, v4, v6, vcc
	v_cmp_le_i32_e32 vcc, s8, v1
	s_or_b64 s[6:7], vcc, s[6:7]
	s_waitcnt vmcnt(0) lgkmcnt(0)
	flat_store_short v[5:6], v2
	s_andn2_b64 exec, exec, s[6:7]
	s_cbranch_execnz .LBB1_2
; %bb.3:
	s_or_b64 exec, exec, s[6:7]
	s_add_u32 s2, s0, s2
	s_addc_u32 s6, s1, s3
	s_add_u32 s3, s0, s4
	s_addc_u32 s4, s1, s5
	s_mov_b64 s[0:1], 0
	v_mov_b32_e32 v2, s6
	v_mov_b32_e32 v3, s4
.LBB1_4:                                ; =>This Inner Loop Header: Depth=1
	v_ashrrev_i32_e32 v1, 31, v0
	v_lshlrev_b64 v[4:5], 1, v[0:1]
	v_add_u32_e32 v0, s9, v0
	v_add_co_u32_e32 v6, vcc, s2, v4
	v_addc_co_u32_e32 v7, vcc, v2, v5, vcc
	flat_load_ushort v1, v[6:7]
	v_add_co_u32_e32 v4, vcc, s3, v4
	v_addc_co_u32_e32 v5, vcc, v3, v5, vcc
	v_cmp_le_i32_e32 vcc, s8, v0
	s_or_b64 s[0:1], vcc, s[0:1]
	s_waitcnt vmcnt(0) lgkmcnt(0)
	flat_store_short v[4:5], v1
	s_andn2_b64 exec, exec, s[0:1]
	s_cbranch_execnz .LBB1_4
.LBB1_5:
	s_endpgm
	.section	.rodata,"a",@progbits
	.p2align	6, 0x0
	.amdhsa_kernel _ZN4vllm18copy_blocks_kernelIN3c104HalfEEEvPlS3_PKli
		.amdhsa_group_segment_fixed_size 0
		.amdhsa_private_segment_fixed_size 0
		.amdhsa_kernarg_size 288
		.amdhsa_user_sgpr_count 6
		.amdhsa_user_sgpr_private_segment_buffer 1
		.amdhsa_user_sgpr_dispatch_ptr 0
		.amdhsa_user_sgpr_queue_ptr 0
		.amdhsa_user_sgpr_kernarg_segment_ptr 1
		.amdhsa_user_sgpr_dispatch_id 0
		.amdhsa_user_sgpr_flat_scratch_init 0
		.amdhsa_user_sgpr_private_segment_size 0
		.amdhsa_uses_dynamic_stack 0
		.amdhsa_system_sgpr_private_segment_wavefront_offset 0
		.amdhsa_system_sgpr_workgroup_id_x 1
		.amdhsa_system_sgpr_workgroup_id_y 1
		.amdhsa_system_sgpr_workgroup_id_z 0
		.amdhsa_system_sgpr_workgroup_info 0
		.amdhsa_system_vgpr_workitem_id 0
		.amdhsa_next_free_vgpr 9
		.amdhsa_next_free_sgpr 20
		.amdhsa_reserve_vcc 1
		.amdhsa_reserve_flat_scratch 0
		.amdhsa_float_round_mode_32 0
		.amdhsa_float_round_mode_16_64 0
		.amdhsa_float_denorm_mode_32 3
		.amdhsa_float_denorm_mode_16_64 3
		.amdhsa_dx10_clamp 1
		.amdhsa_ieee_mode 1
		.amdhsa_fp16_overflow 0
		.amdhsa_exception_fp_ieee_invalid_op 0
		.amdhsa_exception_fp_denorm_src 0
		.amdhsa_exception_fp_ieee_div_zero 0
		.amdhsa_exception_fp_ieee_overflow 0
		.amdhsa_exception_fp_ieee_underflow 0
		.amdhsa_exception_fp_ieee_inexact 0
		.amdhsa_exception_int_div_zero 0
	.end_amdhsa_kernel
	.section	.text._ZN4vllm18copy_blocks_kernelIN3c104HalfEEEvPlS3_PKli,"axG",@progbits,_ZN4vllm18copy_blocks_kernelIN3c104HalfEEEvPlS3_PKli,comdat
.Lfunc_end1:
	.size	_ZN4vllm18copy_blocks_kernelIN3c104HalfEEEvPlS3_PKli, .Lfunc_end1-_ZN4vllm18copy_blocks_kernelIN3c104HalfEEEvPlS3_PKli
                                        ; -- End function
	.set _ZN4vllm18copy_blocks_kernelIN3c104HalfEEEvPlS3_PKli.num_vgpr, 9
	.set _ZN4vllm18copy_blocks_kernelIN3c104HalfEEEvPlS3_PKli.num_agpr, 0
	.set _ZN4vllm18copy_blocks_kernelIN3c104HalfEEEvPlS3_PKli.numbered_sgpr, 20
	.set _ZN4vllm18copy_blocks_kernelIN3c104HalfEEEvPlS3_PKli.num_named_barrier, 0
	.set _ZN4vllm18copy_blocks_kernelIN3c104HalfEEEvPlS3_PKli.private_seg_size, 0
	.set _ZN4vllm18copy_blocks_kernelIN3c104HalfEEEvPlS3_PKli.uses_vcc, 1
	.set _ZN4vllm18copy_blocks_kernelIN3c104HalfEEEvPlS3_PKli.uses_flat_scratch, 0
	.set _ZN4vllm18copy_blocks_kernelIN3c104HalfEEEvPlS3_PKli.has_dyn_sized_stack, 0
	.set _ZN4vllm18copy_blocks_kernelIN3c104HalfEEEvPlS3_PKli.has_recursion, 0
	.set _ZN4vllm18copy_blocks_kernelIN3c104HalfEEEvPlS3_PKli.has_indirect_call, 0
	.section	.AMDGPU.csdata,"",@progbits
; Kernel info:
; codeLenInByte = 404
; TotalNumSgprs: 24
; NumVgprs: 9
; ScratchSize: 0
; MemoryBound: 0
; FloatMode: 240
; IeeeMode: 1
; LDSByteSize: 0 bytes/workgroup (compile time only)
; SGPRBlocks: 2
; VGPRBlocks: 2
; NumSGPRsForWavesPerEU: 24
; NumVGPRsForWavesPerEU: 9
; Occupancy: 10
; WaveLimiterHint : 1
; COMPUTE_PGM_RSRC2:SCRATCH_EN: 0
; COMPUTE_PGM_RSRC2:USER_SGPR: 6
; COMPUTE_PGM_RSRC2:TRAP_HANDLER: 0
; COMPUTE_PGM_RSRC2:TGID_X_EN: 1
; COMPUTE_PGM_RSRC2:TGID_Y_EN: 1
; COMPUTE_PGM_RSRC2:TGID_Z_EN: 0
; COMPUTE_PGM_RSRC2:TIDIG_COMP_CNT: 0
	.section	.text._ZN4vllm18copy_blocks_kernelIN3c108BFloat16EEEvPlS3_PKli,"axG",@progbits,_ZN4vllm18copy_blocks_kernelIN3c108BFloat16EEEvPlS3_PKli,comdat
	.protected	_ZN4vllm18copy_blocks_kernelIN3c108BFloat16EEEvPlS3_PKli ; -- Begin function _ZN4vllm18copy_blocks_kernelIN3c108BFloat16EEEvPlS3_PKli
	.globl	_ZN4vllm18copy_blocks_kernelIN3c108BFloat16EEEvPlS3_PKli
	.p2align	8
	.type	_ZN4vllm18copy_blocks_kernelIN3c108BFloat16EEEvPlS3_PKli,@function
_ZN4vllm18copy_blocks_kernelIN3c108BFloat16EEEvPlS3_PKli: ; @_ZN4vllm18copy_blocks_kernelIN3c108BFloat16EEEvPlS3_PKli
; %bb.0:
	s_load_dword s8, s[4:5], 0x18
	s_waitcnt lgkmcnt(0)
	v_cmp_gt_i32_e32 vcc, s8, v0
	s_and_saveexec_b64 s[2:3], vcc
	s_cbranch_execz .LBB2_5
; %bb.1:
	s_load_dwordx4 s[12:15], s[4:5], 0x0
	s_load_dwordx2 s[2:3], s[4:5], 0x10
	s_mov_b32 s0, s7
	s_ashr_i32 s7, s6, 31
	s_lshl_b64 s[6:7], s[6:7], 3
	s_waitcnt lgkmcnt(0)
	s_add_u32 s10, s14, s6
	s_addc_u32 s11, s15, s7
	s_lshl_b32 s0, s0, 1
	s_ashr_i32 s1, s0, 31
	s_lshl_b64 s[0:1], s[0:1], 3
	s_add_u32 s0, s2, s0
	s_addc_u32 s1, s3, s1
	s_load_dwordx4 s[16:19], s[0:1], 0x0
	s_ashr_i32 s0, s8, 31
	v_mov_b32_e32 v1, v0
	s_waitcnt lgkmcnt(0)
	s_mul_i32 s1, s16, s0
	s_mul_hi_u32 s2, s16, s8
	s_mul_i32 s3, s17, s8
	s_add_i32 s1, s2, s1
	s_mul_i32 s0, s18, s0
	s_add_i32 s3, s1, s3
	s_mul_hi_u32 s1, s18, s8
	s_add_i32 s0, s1, s0
	s_mul_i32 s1, s19, s8
	s_add_i32 s15, s0, s1
	s_add_u32 s6, s12, s6
	s_addc_u32 s7, s13, s7
	s_load_dwordx2 s[12:13], s[6:7], 0x0
	s_load_dwordx2 s[0:1], s[10:11], 0x0
	s_mul_i32 s2, s16, s8
	s_lshl_b64 s[2:3], s[2:3], 1
	s_load_dword s6, s[4:5], 0x2c
	s_mul_i32 s14, s18, s8
	s_waitcnt lgkmcnt(0)
	s_add_u32 s10, s12, s2
	s_addc_u32 s16, s13, s3
	s_lshl_b64 s[4:5], s[14:15], 1
	s_add_u32 s11, s12, s4
	s_addc_u32 s12, s13, s5
	s_and_b32 s9, s6, 0xffff
	s_mov_b64 s[6:7], 0
	v_mov_b32_e32 v3, s16
	v_mov_b32_e32 v4, s12
.LBB2_2:                                ; =>This Inner Loop Header: Depth=1
	v_ashrrev_i32_e32 v2, 31, v1
	v_lshlrev_b64 v[5:6], 1, v[1:2]
	v_add_u32_e32 v1, s9, v1
	v_add_co_u32_e32 v7, vcc, s10, v5
	v_addc_co_u32_e32 v8, vcc, v3, v6, vcc
	flat_load_ushort v2, v[7:8]
	v_add_co_u32_e32 v5, vcc, s11, v5
	v_addc_co_u32_e32 v6, vcc, v4, v6, vcc
	v_cmp_le_i32_e32 vcc, s8, v1
	s_or_b64 s[6:7], vcc, s[6:7]
	s_waitcnt vmcnt(0) lgkmcnt(0)
	flat_store_short v[5:6], v2
	s_andn2_b64 exec, exec, s[6:7]
	s_cbranch_execnz .LBB2_2
; %bb.3:
	s_or_b64 exec, exec, s[6:7]
	s_add_u32 s2, s0, s2
	s_addc_u32 s6, s1, s3
	s_add_u32 s3, s0, s4
	s_addc_u32 s4, s1, s5
	s_mov_b64 s[0:1], 0
	v_mov_b32_e32 v2, s6
	v_mov_b32_e32 v3, s4
.LBB2_4:                                ; =>This Inner Loop Header: Depth=1
	v_ashrrev_i32_e32 v1, 31, v0
	v_lshlrev_b64 v[4:5], 1, v[0:1]
	v_add_u32_e32 v0, s9, v0
	v_add_co_u32_e32 v6, vcc, s2, v4
	v_addc_co_u32_e32 v7, vcc, v2, v5, vcc
	flat_load_ushort v1, v[6:7]
	v_add_co_u32_e32 v4, vcc, s3, v4
	v_addc_co_u32_e32 v5, vcc, v3, v5, vcc
	v_cmp_le_i32_e32 vcc, s8, v0
	s_or_b64 s[0:1], vcc, s[0:1]
	s_waitcnt vmcnt(0) lgkmcnt(0)
	flat_store_short v[4:5], v1
	s_andn2_b64 exec, exec, s[0:1]
	s_cbranch_execnz .LBB2_4
.LBB2_5:
	s_endpgm
	.section	.rodata,"a",@progbits
	.p2align	6, 0x0
	.amdhsa_kernel _ZN4vllm18copy_blocks_kernelIN3c108BFloat16EEEvPlS3_PKli
		.amdhsa_group_segment_fixed_size 0
		.amdhsa_private_segment_fixed_size 0
		.amdhsa_kernarg_size 288
		.amdhsa_user_sgpr_count 6
		.amdhsa_user_sgpr_private_segment_buffer 1
		.amdhsa_user_sgpr_dispatch_ptr 0
		.amdhsa_user_sgpr_queue_ptr 0
		.amdhsa_user_sgpr_kernarg_segment_ptr 1
		.amdhsa_user_sgpr_dispatch_id 0
		.amdhsa_user_sgpr_flat_scratch_init 0
		.amdhsa_user_sgpr_private_segment_size 0
		.amdhsa_uses_dynamic_stack 0
		.amdhsa_system_sgpr_private_segment_wavefront_offset 0
		.amdhsa_system_sgpr_workgroup_id_x 1
		.amdhsa_system_sgpr_workgroup_id_y 1
		.amdhsa_system_sgpr_workgroup_id_z 0
		.amdhsa_system_sgpr_workgroup_info 0
		.amdhsa_system_vgpr_workitem_id 0
		.amdhsa_next_free_vgpr 9
		.amdhsa_next_free_sgpr 20
		.amdhsa_reserve_vcc 1
		.amdhsa_reserve_flat_scratch 0
		.amdhsa_float_round_mode_32 0
		.amdhsa_float_round_mode_16_64 0
		.amdhsa_float_denorm_mode_32 3
		.amdhsa_float_denorm_mode_16_64 3
		.amdhsa_dx10_clamp 1
		.amdhsa_ieee_mode 1
		.amdhsa_fp16_overflow 0
		.amdhsa_exception_fp_ieee_invalid_op 0
		.amdhsa_exception_fp_denorm_src 0
		.amdhsa_exception_fp_ieee_div_zero 0
		.amdhsa_exception_fp_ieee_overflow 0
		.amdhsa_exception_fp_ieee_underflow 0
		.amdhsa_exception_fp_ieee_inexact 0
		.amdhsa_exception_int_div_zero 0
	.end_amdhsa_kernel
	.section	.text._ZN4vllm18copy_blocks_kernelIN3c108BFloat16EEEvPlS3_PKli,"axG",@progbits,_ZN4vllm18copy_blocks_kernelIN3c108BFloat16EEEvPlS3_PKli,comdat
.Lfunc_end2:
	.size	_ZN4vllm18copy_blocks_kernelIN3c108BFloat16EEEvPlS3_PKli, .Lfunc_end2-_ZN4vllm18copy_blocks_kernelIN3c108BFloat16EEEvPlS3_PKli
                                        ; -- End function
	.set _ZN4vllm18copy_blocks_kernelIN3c108BFloat16EEEvPlS3_PKli.num_vgpr, 9
	.set _ZN4vllm18copy_blocks_kernelIN3c108BFloat16EEEvPlS3_PKli.num_agpr, 0
	.set _ZN4vllm18copy_blocks_kernelIN3c108BFloat16EEEvPlS3_PKli.numbered_sgpr, 20
	.set _ZN4vllm18copy_blocks_kernelIN3c108BFloat16EEEvPlS3_PKli.num_named_barrier, 0
	.set _ZN4vllm18copy_blocks_kernelIN3c108BFloat16EEEvPlS3_PKli.private_seg_size, 0
	.set _ZN4vllm18copy_blocks_kernelIN3c108BFloat16EEEvPlS3_PKli.uses_vcc, 1
	.set _ZN4vllm18copy_blocks_kernelIN3c108BFloat16EEEvPlS3_PKli.uses_flat_scratch, 0
	.set _ZN4vllm18copy_blocks_kernelIN3c108BFloat16EEEvPlS3_PKli.has_dyn_sized_stack, 0
	.set _ZN4vllm18copy_blocks_kernelIN3c108BFloat16EEEvPlS3_PKli.has_recursion, 0
	.set _ZN4vllm18copy_blocks_kernelIN3c108BFloat16EEEvPlS3_PKli.has_indirect_call, 0
	.section	.AMDGPU.csdata,"",@progbits
; Kernel info:
; codeLenInByte = 404
; TotalNumSgprs: 24
; NumVgprs: 9
; ScratchSize: 0
; MemoryBound: 0
; FloatMode: 240
; IeeeMode: 1
; LDSByteSize: 0 bytes/workgroup (compile time only)
; SGPRBlocks: 2
; VGPRBlocks: 2
; NumSGPRsForWavesPerEU: 24
; NumVGPRsForWavesPerEU: 9
; Occupancy: 10
; WaveLimiterHint : 1
; COMPUTE_PGM_RSRC2:SCRATCH_EN: 0
; COMPUTE_PGM_RSRC2:USER_SGPR: 6
; COMPUTE_PGM_RSRC2:TRAP_HANDLER: 0
; COMPUTE_PGM_RSRC2:TGID_X_EN: 1
; COMPUTE_PGM_RSRC2:TGID_Y_EN: 1
; COMPUTE_PGM_RSRC2:TGID_Z_EN: 0
; COMPUTE_PGM_RSRC2:TIDIG_COMP_CNT: 0
	.section	.text._ZN4vllm18copy_blocks_kernelIhEEvPlS1_PKli,"axG",@progbits,_ZN4vllm18copy_blocks_kernelIhEEvPlS1_PKli,comdat
	.protected	_ZN4vllm18copy_blocks_kernelIhEEvPlS1_PKli ; -- Begin function _ZN4vllm18copy_blocks_kernelIhEEvPlS1_PKli
	.globl	_ZN4vllm18copy_blocks_kernelIhEEvPlS1_PKli
	.p2align	8
	.type	_ZN4vllm18copy_blocks_kernelIhEEvPlS1_PKli,@function
_ZN4vllm18copy_blocks_kernelIhEEvPlS1_PKli: ; @_ZN4vllm18copy_blocks_kernelIhEEvPlS1_PKli
; %bb.0:
	s_load_dword s8, s[4:5], 0x18
	s_waitcnt lgkmcnt(0)
	v_cmp_gt_i32_e32 vcc, s8, v0
	s_and_saveexec_b64 s[2:3], vcc
	s_cbranch_execz .LBB3_5
; %bb.1:
	s_load_dwordx4 s[12:15], s[4:5], 0x0
	s_load_dwordx2 s[2:3], s[4:5], 0x10
	s_mov_b32 s0, s7
	s_ashr_i32 s7, s6, 31
	s_lshl_b64 s[10:11], s[6:7], 3
	s_waitcnt lgkmcnt(0)
	s_add_u32 s14, s14, s10
	s_addc_u32 s15, s15, s11
	s_lshl_b32 s0, s0, 1
	s_ashr_i32 s1, s0, 31
	s_lshl_b64 s[0:1], s[0:1], 3
	s_add_u32 s0, s2, s0
	s_addc_u32 s1, s3, s1
	s_load_dwordx4 s[16:19], s[0:1], 0x0
	s_ashr_i32 s0, s8, 31
	v_mov_b32_e32 v3, v0
	s_waitcnt lgkmcnt(0)
	s_mul_i32 s1, s16, s0
	s_mul_hi_u32 s2, s16, s8
	s_mul_i32 s3, s17, s8
	s_add_i32 s1, s2, s1
	s_mul_i32 s0, s18, s0
	s_add_i32 s6, s1, s3
	s_mul_hi_u32 s1, s18, s8
	s_add_i32 s0, s1, s0
	s_mul_i32 s1, s19, s8
	s_add_i32 s7, s0, s1
	s_add_u32 s2, s12, s10
	s_addc_u32 s3, s13, s11
	s_load_dwordx2 s[12:13], s[2:3], 0x0
	s_load_dwordx2 s[0:1], s[14:15], 0x0
	s_mul_i32 s10, s16, s8
	s_load_dword s2, s[4:5], 0x2c
	s_mul_i32 s9, s18, s8
	s_waitcnt lgkmcnt(0)
	s_add_u32 s5, s12, s10
	s_addc_u32 s14, s13, s6
	s_add_u32 s11, s12, s9
	s_addc_u32 s12, s13, s7
	s_and_b32 s4, s2, 0xffff
	s_mov_b64 s[2:3], 0
	v_mov_b32_e32 v1, s14
	v_mov_b32_e32 v2, s12
.LBB3_2:                                ; =>This Inner Loop Header: Depth=1
	v_ashrrev_i32_e32 v6, 31, v3
	v_add_co_u32_e32 v4, vcc, s5, v3
	v_addc_co_u32_e32 v5, vcc, v1, v6, vcc
	flat_load_ubyte v7, v[4:5]
	v_add_co_u32_e32 v4, vcc, s11, v3
	v_add_u32_e32 v3, s4, v3
	v_addc_co_u32_e32 v5, vcc, v2, v6, vcc
	v_cmp_le_i32_e32 vcc, s8, v3
	s_or_b64 s[2:3], vcc, s[2:3]
	s_waitcnt vmcnt(0) lgkmcnt(0)
	flat_store_byte v[4:5], v7
	s_andn2_b64 exec, exec, s[2:3]
	s_cbranch_execnz .LBB3_2
; %bb.3:
	s_or_b64 exec, exec, s[2:3]
	s_add_u32 s2, s0, s10
	s_addc_u32 s5, s1, s6
	s_add_u32 s3, s0, s9
	s_addc_u32 s6, s1, s7
	s_mov_b64 s[0:1], 0
	v_mov_b32_e32 v1, s5
	v_mov_b32_e32 v2, s6
.LBB3_4:                                ; =>This Inner Loop Header: Depth=1
	v_ashrrev_i32_e32 v5, 31, v0
	v_add_co_u32_e32 v3, vcc, s2, v0
	v_addc_co_u32_e32 v4, vcc, v1, v5, vcc
	flat_load_ubyte v6, v[3:4]
	v_add_co_u32_e32 v3, vcc, s3, v0
	v_add_u32_e32 v0, s4, v0
	v_addc_co_u32_e32 v4, vcc, v2, v5, vcc
	v_cmp_le_i32_e32 vcc, s8, v0
	s_or_b64 s[0:1], vcc, s[0:1]
	s_waitcnt vmcnt(0) lgkmcnt(0)
	flat_store_byte v[3:4], v6
	s_andn2_b64 exec, exec, s[0:1]
	s_cbranch_execnz .LBB3_4
.LBB3_5:
	s_endpgm
	.section	.rodata,"a",@progbits
	.p2align	6, 0x0
	.amdhsa_kernel _ZN4vllm18copy_blocks_kernelIhEEvPlS1_PKli
		.amdhsa_group_segment_fixed_size 0
		.amdhsa_private_segment_fixed_size 0
		.amdhsa_kernarg_size 288
		.amdhsa_user_sgpr_count 6
		.amdhsa_user_sgpr_private_segment_buffer 1
		.amdhsa_user_sgpr_dispatch_ptr 0
		.amdhsa_user_sgpr_queue_ptr 0
		.amdhsa_user_sgpr_kernarg_segment_ptr 1
		.amdhsa_user_sgpr_dispatch_id 0
		.amdhsa_user_sgpr_flat_scratch_init 0
		.amdhsa_user_sgpr_private_segment_size 0
		.amdhsa_uses_dynamic_stack 0
		.amdhsa_system_sgpr_private_segment_wavefront_offset 0
		.amdhsa_system_sgpr_workgroup_id_x 1
		.amdhsa_system_sgpr_workgroup_id_y 1
		.amdhsa_system_sgpr_workgroup_id_z 0
		.amdhsa_system_sgpr_workgroup_info 0
		.amdhsa_system_vgpr_workitem_id 0
		.amdhsa_next_free_vgpr 8
		.amdhsa_next_free_sgpr 20
		.amdhsa_reserve_vcc 1
		.amdhsa_reserve_flat_scratch 0
		.amdhsa_float_round_mode_32 0
		.amdhsa_float_round_mode_16_64 0
		.amdhsa_float_denorm_mode_32 3
		.amdhsa_float_denorm_mode_16_64 3
		.amdhsa_dx10_clamp 1
		.amdhsa_ieee_mode 1
		.amdhsa_fp16_overflow 0
		.amdhsa_exception_fp_ieee_invalid_op 0
		.amdhsa_exception_fp_denorm_src 0
		.amdhsa_exception_fp_ieee_div_zero 0
		.amdhsa_exception_fp_ieee_overflow 0
		.amdhsa_exception_fp_ieee_underflow 0
		.amdhsa_exception_fp_ieee_inexact 0
		.amdhsa_exception_int_div_zero 0
	.end_amdhsa_kernel
	.section	.text._ZN4vllm18copy_blocks_kernelIhEEvPlS1_PKli,"axG",@progbits,_ZN4vllm18copy_blocks_kernelIhEEvPlS1_PKli,comdat
.Lfunc_end3:
	.size	_ZN4vllm18copy_blocks_kernelIhEEvPlS1_PKli, .Lfunc_end3-_ZN4vllm18copy_blocks_kernelIhEEvPlS1_PKli
                                        ; -- End function
	.set _ZN4vllm18copy_blocks_kernelIhEEvPlS1_PKli.num_vgpr, 8
	.set _ZN4vllm18copy_blocks_kernelIhEEvPlS1_PKli.num_agpr, 0
	.set _ZN4vllm18copy_blocks_kernelIhEEvPlS1_PKli.numbered_sgpr, 20
	.set _ZN4vllm18copy_blocks_kernelIhEEvPlS1_PKli.num_named_barrier, 0
	.set _ZN4vllm18copy_blocks_kernelIhEEvPlS1_PKli.private_seg_size, 0
	.set _ZN4vllm18copy_blocks_kernelIhEEvPlS1_PKli.uses_vcc, 1
	.set _ZN4vllm18copy_blocks_kernelIhEEvPlS1_PKli.uses_flat_scratch, 0
	.set _ZN4vllm18copy_blocks_kernelIhEEvPlS1_PKli.has_dyn_sized_stack, 0
	.set _ZN4vllm18copy_blocks_kernelIhEEvPlS1_PKli.has_recursion, 0
	.set _ZN4vllm18copy_blocks_kernelIhEEvPlS1_PKli.has_indirect_call, 0
	.section	.AMDGPU.csdata,"",@progbits
; Kernel info:
; codeLenInByte = 380
; TotalNumSgprs: 24
; NumVgprs: 8
; ScratchSize: 0
; MemoryBound: 0
; FloatMode: 240
; IeeeMode: 1
; LDSByteSize: 0 bytes/workgroup (compile time only)
; SGPRBlocks: 2
; VGPRBlocks: 1
; NumSGPRsForWavesPerEU: 24
; NumVGPRsForWavesPerEU: 8
; Occupancy: 10
; WaveLimiterHint : 1
; COMPUTE_PGM_RSRC2:SCRATCH_EN: 0
; COMPUTE_PGM_RSRC2:USER_SGPR: 6
; COMPUTE_PGM_RSRC2:TRAP_HANDLER: 0
; COMPUTE_PGM_RSRC2:TGID_X_EN: 1
; COMPUTE_PGM_RSRC2:TGID_Y_EN: 1
; COMPUTE_PGM_RSRC2:TGID_Z_EN: 0
; COMPUTE_PGM_RSRC2:TIDIG_COMP_CNT: 0
	.section	.text._ZN4vllm22copy_blocks_mla_kernelIfEEvPlPKli,"axG",@progbits,_ZN4vllm22copy_blocks_mla_kernelIfEEvPlPKli,comdat
	.protected	_ZN4vllm22copy_blocks_mla_kernelIfEEvPlPKli ; -- Begin function _ZN4vllm22copy_blocks_mla_kernelIfEEvPlPKli
	.globl	_ZN4vllm22copy_blocks_mla_kernelIfEEvPlPKli
	.p2align	8
	.type	_ZN4vllm22copy_blocks_mla_kernelIfEEvPlPKli,@function
_ZN4vllm22copy_blocks_mla_kernelIfEEvPlPKli: ; @_ZN4vllm22copy_blocks_mla_kernelIfEEvPlPKli
; %bb.0:
	s_load_dword s8, s[4:5], 0x10
	s_waitcnt lgkmcnt(0)
	v_cmp_gt_i32_e32 vcc, s8, v0
	s_and_saveexec_b64 s[0:1], vcc
	s_cbranch_execz .LBB4_3
; %bb.1:
	s_load_dwordx4 s[0:3], s[4:5], 0x0
	s_load_dword s9, s[4:5], 0x24
	s_lshl_b32 s10, s7, 1
	s_ashr_i32 s11, s10, 31
	s_lshl_b64 s[4:5], s[10:11], 3
	s_waitcnt lgkmcnt(0)
	s_add_u32 s2, s2, s4
	s_addc_u32 s3, s3, s5
	s_load_dwordx4 s[12:15], s[2:3], 0x0
	s_waitcnt lgkmcnt(0)
	s_mul_i32 s2, s15, s8
	s_mul_hi_u32 s3, s14, s8
	s_mul_i32 s4, s13, s8
	s_mul_hi_u32 s7, s12, s8
	s_add_i32 s5, s3, s2
	s_add_i32 s3, s7, s4
	s_ashr_i32 s7, s6, 31
	s_lshl_b64 s[6:7], s[6:7], 3
	s_add_u32 s0, s0, s6
	s_addc_u32 s1, s1, s7
	s_load_dwordx2 s[0:1], s[0:1], 0x0
	s_mul_i32 s2, s12, s8
	s_lshl_b64 s[2:3], s[2:3], 2
	s_mul_i32 s4, s14, s8
	s_waitcnt lgkmcnt(0)
	s_add_u32 s2, s0, s2
	s_addc_u32 s6, s1, s3
	s_lshl_b64 s[4:5], s[4:5], 2
	s_add_u32 s3, s0, s4
	s_addc_u32 s5, s1, s5
	s_and_b32 s4, s9, 0xffff
	s_mov_b64 s[0:1], 0
	v_mov_b32_e32 v2, s6
	v_mov_b32_e32 v3, s5
.LBB4_2:                                ; =>This Inner Loop Header: Depth=1
	v_ashrrev_i32_e32 v1, 31, v0
	v_lshlrev_b64 v[4:5], 2, v[0:1]
	v_add_u32_e32 v0, s4, v0
	v_add_co_u32_e32 v6, vcc, s2, v4
	v_addc_co_u32_e32 v7, vcc, v2, v5, vcc
	flat_load_dword v1, v[6:7]
	v_add_co_u32_e32 v4, vcc, s3, v4
	v_addc_co_u32_e32 v5, vcc, v3, v5, vcc
	v_cmp_le_i32_e32 vcc, s8, v0
	s_or_b64 s[0:1], vcc, s[0:1]
	s_waitcnt vmcnt(0) lgkmcnt(0)
	flat_store_dword v[4:5], v1
	s_andn2_b64 exec, exec, s[0:1]
	s_cbranch_execnz .LBB4_2
.LBB4_3:
	s_endpgm
	.section	.rodata,"a",@progbits
	.p2align	6, 0x0
	.amdhsa_kernel _ZN4vllm22copy_blocks_mla_kernelIfEEvPlPKli
		.amdhsa_group_segment_fixed_size 0
		.amdhsa_private_segment_fixed_size 0
		.amdhsa_kernarg_size 280
		.amdhsa_user_sgpr_count 6
		.amdhsa_user_sgpr_private_segment_buffer 1
		.amdhsa_user_sgpr_dispatch_ptr 0
		.amdhsa_user_sgpr_queue_ptr 0
		.amdhsa_user_sgpr_kernarg_segment_ptr 1
		.amdhsa_user_sgpr_dispatch_id 0
		.amdhsa_user_sgpr_flat_scratch_init 0
		.amdhsa_user_sgpr_private_segment_size 0
		.amdhsa_uses_dynamic_stack 0
		.amdhsa_system_sgpr_private_segment_wavefront_offset 0
		.amdhsa_system_sgpr_workgroup_id_x 1
		.amdhsa_system_sgpr_workgroup_id_y 1
		.amdhsa_system_sgpr_workgroup_id_z 0
		.amdhsa_system_sgpr_workgroup_info 0
		.amdhsa_system_vgpr_workitem_id 0
		.amdhsa_next_free_vgpr 8
		.amdhsa_next_free_sgpr 16
		.amdhsa_reserve_vcc 1
		.amdhsa_reserve_flat_scratch 0
		.amdhsa_float_round_mode_32 0
		.amdhsa_float_round_mode_16_64 0
		.amdhsa_float_denorm_mode_32 3
		.amdhsa_float_denorm_mode_16_64 3
		.amdhsa_dx10_clamp 1
		.amdhsa_ieee_mode 1
		.amdhsa_fp16_overflow 0
		.amdhsa_exception_fp_ieee_invalid_op 0
		.amdhsa_exception_fp_denorm_src 0
		.amdhsa_exception_fp_ieee_div_zero 0
		.amdhsa_exception_fp_ieee_overflow 0
		.amdhsa_exception_fp_ieee_underflow 0
		.amdhsa_exception_fp_ieee_inexact 0
		.amdhsa_exception_int_div_zero 0
	.end_amdhsa_kernel
	.section	.text._ZN4vllm22copy_blocks_mla_kernelIfEEvPlPKli,"axG",@progbits,_ZN4vllm22copy_blocks_mla_kernelIfEEvPlPKli,comdat
.Lfunc_end4:
	.size	_ZN4vllm22copy_blocks_mla_kernelIfEEvPlPKli, .Lfunc_end4-_ZN4vllm22copy_blocks_mla_kernelIfEEvPlPKli
                                        ; -- End function
	.set _ZN4vllm22copy_blocks_mla_kernelIfEEvPlPKli.num_vgpr, 8
	.set _ZN4vllm22copy_blocks_mla_kernelIfEEvPlPKli.num_agpr, 0
	.set _ZN4vllm22copy_blocks_mla_kernelIfEEvPlPKli.numbered_sgpr, 16
	.set _ZN4vllm22copy_blocks_mla_kernelIfEEvPlPKli.num_named_barrier, 0
	.set _ZN4vllm22copy_blocks_mla_kernelIfEEvPlPKli.private_seg_size, 0
	.set _ZN4vllm22copy_blocks_mla_kernelIfEEvPlPKli.uses_vcc, 1
	.set _ZN4vllm22copy_blocks_mla_kernelIfEEvPlPKli.uses_flat_scratch, 0
	.set _ZN4vllm22copy_blocks_mla_kernelIfEEvPlPKli.has_dyn_sized_stack, 0
	.set _ZN4vllm22copy_blocks_mla_kernelIfEEvPlPKli.has_recursion, 0
	.set _ZN4vllm22copy_blocks_mla_kernelIfEEvPlPKli.has_indirect_call, 0
	.section	.AMDGPU.csdata,"",@progbits
; Kernel info:
; codeLenInByte = 252
; TotalNumSgprs: 20
; NumVgprs: 8
; ScratchSize: 0
; MemoryBound: 0
; FloatMode: 240
; IeeeMode: 1
; LDSByteSize: 0 bytes/workgroup (compile time only)
; SGPRBlocks: 2
; VGPRBlocks: 1
; NumSGPRsForWavesPerEU: 20
; NumVGPRsForWavesPerEU: 8
; Occupancy: 10
; WaveLimiterHint : 1
; COMPUTE_PGM_RSRC2:SCRATCH_EN: 0
; COMPUTE_PGM_RSRC2:USER_SGPR: 6
; COMPUTE_PGM_RSRC2:TRAP_HANDLER: 0
; COMPUTE_PGM_RSRC2:TGID_X_EN: 1
; COMPUTE_PGM_RSRC2:TGID_Y_EN: 1
; COMPUTE_PGM_RSRC2:TGID_Z_EN: 0
; COMPUTE_PGM_RSRC2:TIDIG_COMP_CNT: 0
	.section	.text._ZN4vllm22copy_blocks_mla_kernelIN3c104HalfEEEvPlPKli,"axG",@progbits,_ZN4vllm22copy_blocks_mla_kernelIN3c104HalfEEEvPlPKli,comdat
	.protected	_ZN4vllm22copy_blocks_mla_kernelIN3c104HalfEEEvPlPKli ; -- Begin function _ZN4vllm22copy_blocks_mla_kernelIN3c104HalfEEEvPlPKli
	.globl	_ZN4vllm22copy_blocks_mla_kernelIN3c104HalfEEEvPlPKli
	.p2align	8
	.type	_ZN4vllm22copy_blocks_mla_kernelIN3c104HalfEEEvPlPKli,@function
_ZN4vllm22copy_blocks_mla_kernelIN3c104HalfEEEvPlPKli: ; @_ZN4vllm22copy_blocks_mla_kernelIN3c104HalfEEEvPlPKli
; %bb.0:
	s_load_dword s8, s[4:5], 0x10
	s_waitcnt lgkmcnt(0)
	v_cmp_gt_i32_e32 vcc, s8, v0
	s_and_saveexec_b64 s[0:1], vcc
	s_cbranch_execz .LBB5_3
; %bb.1:
	s_load_dwordx4 s[0:3], s[4:5], 0x0
	s_load_dword s9, s[4:5], 0x24
	s_lshl_b32 s10, s7, 1
	s_ashr_i32 s11, s10, 31
	s_lshl_b64 s[4:5], s[10:11], 3
	s_waitcnt lgkmcnt(0)
	s_add_u32 s2, s2, s4
	s_addc_u32 s3, s3, s5
	s_load_dwordx4 s[12:15], s[2:3], 0x0
	s_waitcnt lgkmcnt(0)
	s_mul_i32 s2, s15, s8
	s_mul_hi_u32 s3, s14, s8
	s_mul_i32 s4, s13, s8
	s_mul_hi_u32 s7, s12, s8
	s_add_i32 s5, s3, s2
	s_add_i32 s3, s7, s4
	s_ashr_i32 s7, s6, 31
	s_lshl_b64 s[6:7], s[6:7], 3
	s_add_u32 s0, s0, s6
	s_addc_u32 s1, s1, s7
	s_load_dwordx2 s[0:1], s[0:1], 0x0
	s_mul_i32 s2, s12, s8
	s_lshl_b64 s[2:3], s[2:3], 1
	s_mul_i32 s4, s14, s8
	s_waitcnt lgkmcnt(0)
	s_add_u32 s2, s0, s2
	s_addc_u32 s6, s1, s3
	s_lshl_b64 s[4:5], s[4:5], 1
	s_add_u32 s3, s0, s4
	s_addc_u32 s5, s1, s5
	s_and_b32 s4, s9, 0xffff
	s_mov_b64 s[0:1], 0
	v_mov_b32_e32 v2, s6
	v_mov_b32_e32 v3, s5
.LBB5_2:                                ; =>This Inner Loop Header: Depth=1
	v_ashrrev_i32_e32 v1, 31, v0
	v_lshlrev_b64 v[4:5], 1, v[0:1]
	v_add_u32_e32 v0, s4, v0
	v_add_co_u32_e32 v6, vcc, s2, v4
	v_addc_co_u32_e32 v7, vcc, v2, v5, vcc
	flat_load_ushort v1, v[6:7]
	v_add_co_u32_e32 v4, vcc, s3, v4
	v_addc_co_u32_e32 v5, vcc, v3, v5, vcc
	v_cmp_le_i32_e32 vcc, s8, v0
	s_or_b64 s[0:1], vcc, s[0:1]
	s_waitcnt vmcnt(0) lgkmcnt(0)
	flat_store_short v[4:5], v1
	s_andn2_b64 exec, exec, s[0:1]
	s_cbranch_execnz .LBB5_2
.LBB5_3:
	s_endpgm
	.section	.rodata,"a",@progbits
	.p2align	6, 0x0
	.amdhsa_kernel _ZN4vllm22copy_blocks_mla_kernelIN3c104HalfEEEvPlPKli
		.amdhsa_group_segment_fixed_size 0
		.amdhsa_private_segment_fixed_size 0
		.amdhsa_kernarg_size 280
		.amdhsa_user_sgpr_count 6
		.amdhsa_user_sgpr_private_segment_buffer 1
		.amdhsa_user_sgpr_dispatch_ptr 0
		.amdhsa_user_sgpr_queue_ptr 0
		.amdhsa_user_sgpr_kernarg_segment_ptr 1
		.amdhsa_user_sgpr_dispatch_id 0
		.amdhsa_user_sgpr_flat_scratch_init 0
		.amdhsa_user_sgpr_private_segment_size 0
		.amdhsa_uses_dynamic_stack 0
		.amdhsa_system_sgpr_private_segment_wavefront_offset 0
		.amdhsa_system_sgpr_workgroup_id_x 1
		.amdhsa_system_sgpr_workgroup_id_y 1
		.amdhsa_system_sgpr_workgroup_id_z 0
		.amdhsa_system_sgpr_workgroup_info 0
		.amdhsa_system_vgpr_workitem_id 0
		.amdhsa_next_free_vgpr 8
		.amdhsa_next_free_sgpr 16
		.amdhsa_reserve_vcc 1
		.amdhsa_reserve_flat_scratch 0
		.amdhsa_float_round_mode_32 0
		.amdhsa_float_round_mode_16_64 0
		.amdhsa_float_denorm_mode_32 3
		.amdhsa_float_denorm_mode_16_64 3
		.amdhsa_dx10_clamp 1
		.amdhsa_ieee_mode 1
		.amdhsa_fp16_overflow 0
		.amdhsa_exception_fp_ieee_invalid_op 0
		.amdhsa_exception_fp_denorm_src 0
		.amdhsa_exception_fp_ieee_div_zero 0
		.amdhsa_exception_fp_ieee_overflow 0
		.amdhsa_exception_fp_ieee_underflow 0
		.amdhsa_exception_fp_ieee_inexact 0
		.amdhsa_exception_int_div_zero 0
	.end_amdhsa_kernel
	.section	.text._ZN4vllm22copy_blocks_mla_kernelIN3c104HalfEEEvPlPKli,"axG",@progbits,_ZN4vllm22copy_blocks_mla_kernelIN3c104HalfEEEvPlPKli,comdat
.Lfunc_end5:
	.size	_ZN4vllm22copy_blocks_mla_kernelIN3c104HalfEEEvPlPKli, .Lfunc_end5-_ZN4vllm22copy_blocks_mla_kernelIN3c104HalfEEEvPlPKli
                                        ; -- End function
	.set _ZN4vllm22copy_blocks_mla_kernelIN3c104HalfEEEvPlPKli.num_vgpr, 8
	.set _ZN4vllm22copy_blocks_mla_kernelIN3c104HalfEEEvPlPKli.num_agpr, 0
	.set _ZN4vllm22copy_blocks_mla_kernelIN3c104HalfEEEvPlPKli.numbered_sgpr, 16
	.set _ZN4vllm22copy_blocks_mla_kernelIN3c104HalfEEEvPlPKli.num_named_barrier, 0
	.set _ZN4vllm22copy_blocks_mla_kernelIN3c104HalfEEEvPlPKli.private_seg_size, 0
	.set _ZN4vllm22copy_blocks_mla_kernelIN3c104HalfEEEvPlPKli.uses_vcc, 1
	.set _ZN4vllm22copy_blocks_mla_kernelIN3c104HalfEEEvPlPKli.uses_flat_scratch, 0
	.set _ZN4vllm22copy_blocks_mla_kernelIN3c104HalfEEEvPlPKli.has_dyn_sized_stack, 0
	.set _ZN4vllm22copy_blocks_mla_kernelIN3c104HalfEEEvPlPKli.has_recursion, 0
	.set _ZN4vllm22copy_blocks_mla_kernelIN3c104HalfEEEvPlPKli.has_indirect_call, 0
	.section	.AMDGPU.csdata,"",@progbits
; Kernel info:
; codeLenInByte = 252
; TotalNumSgprs: 20
; NumVgprs: 8
; ScratchSize: 0
; MemoryBound: 0
; FloatMode: 240
; IeeeMode: 1
; LDSByteSize: 0 bytes/workgroup (compile time only)
; SGPRBlocks: 2
; VGPRBlocks: 1
; NumSGPRsForWavesPerEU: 20
; NumVGPRsForWavesPerEU: 8
; Occupancy: 10
; WaveLimiterHint : 1
; COMPUTE_PGM_RSRC2:SCRATCH_EN: 0
; COMPUTE_PGM_RSRC2:USER_SGPR: 6
; COMPUTE_PGM_RSRC2:TRAP_HANDLER: 0
; COMPUTE_PGM_RSRC2:TGID_X_EN: 1
; COMPUTE_PGM_RSRC2:TGID_Y_EN: 1
; COMPUTE_PGM_RSRC2:TGID_Z_EN: 0
; COMPUTE_PGM_RSRC2:TIDIG_COMP_CNT: 0
	.section	.text._ZN4vllm22copy_blocks_mla_kernelIN3c108BFloat16EEEvPlPKli,"axG",@progbits,_ZN4vllm22copy_blocks_mla_kernelIN3c108BFloat16EEEvPlPKli,comdat
	.protected	_ZN4vllm22copy_blocks_mla_kernelIN3c108BFloat16EEEvPlPKli ; -- Begin function _ZN4vllm22copy_blocks_mla_kernelIN3c108BFloat16EEEvPlPKli
	.globl	_ZN4vllm22copy_blocks_mla_kernelIN3c108BFloat16EEEvPlPKli
	.p2align	8
	.type	_ZN4vllm22copy_blocks_mla_kernelIN3c108BFloat16EEEvPlPKli,@function
_ZN4vllm22copy_blocks_mla_kernelIN3c108BFloat16EEEvPlPKli: ; @_ZN4vllm22copy_blocks_mla_kernelIN3c108BFloat16EEEvPlPKli
; %bb.0:
	s_load_dword s8, s[4:5], 0x10
	s_waitcnt lgkmcnt(0)
	v_cmp_gt_i32_e32 vcc, s8, v0
	s_and_saveexec_b64 s[0:1], vcc
	s_cbranch_execz .LBB6_3
; %bb.1:
	s_load_dwordx4 s[0:3], s[4:5], 0x0
	s_load_dword s9, s[4:5], 0x24
	s_lshl_b32 s10, s7, 1
	s_ashr_i32 s11, s10, 31
	s_lshl_b64 s[4:5], s[10:11], 3
	s_waitcnt lgkmcnt(0)
	s_add_u32 s2, s2, s4
	s_addc_u32 s3, s3, s5
	s_load_dwordx4 s[12:15], s[2:3], 0x0
	s_waitcnt lgkmcnt(0)
	s_mul_i32 s2, s15, s8
	s_mul_hi_u32 s3, s14, s8
	s_mul_i32 s4, s13, s8
	s_mul_hi_u32 s7, s12, s8
	s_add_i32 s5, s3, s2
	s_add_i32 s3, s7, s4
	s_ashr_i32 s7, s6, 31
	s_lshl_b64 s[6:7], s[6:7], 3
	s_add_u32 s0, s0, s6
	s_addc_u32 s1, s1, s7
	s_load_dwordx2 s[0:1], s[0:1], 0x0
	s_mul_i32 s2, s12, s8
	s_lshl_b64 s[2:3], s[2:3], 1
	s_mul_i32 s4, s14, s8
	s_waitcnt lgkmcnt(0)
	s_add_u32 s2, s0, s2
	s_addc_u32 s6, s1, s3
	s_lshl_b64 s[4:5], s[4:5], 1
	s_add_u32 s3, s0, s4
	s_addc_u32 s5, s1, s5
	s_and_b32 s4, s9, 0xffff
	s_mov_b64 s[0:1], 0
	v_mov_b32_e32 v2, s6
	v_mov_b32_e32 v3, s5
.LBB6_2:                                ; =>This Inner Loop Header: Depth=1
	v_ashrrev_i32_e32 v1, 31, v0
	v_lshlrev_b64 v[4:5], 1, v[0:1]
	v_add_u32_e32 v0, s4, v0
	v_add_co_u32_e32 v6, vcc, s2, v4
	v_addc_co_u32_e32 v7, vcc, v2, v5, vcc
	flat_load_ushort v1, v[6:7]
	v_add_co_u32_e32 v4, vcc, s3, v4
	v_addc_co_u32_e32 v5, vcc, v3, v5, vcc
	v_cmp_le_i32_e32 vcc, s8, v0
	s_or_b64 s[0:1], vcc, s[0:1]
	s_waitcnt vmcnt(0) lgkmcnt(0)
	flat_store_short v[4:5], v1
	s_andn2_b64 exec, exec, s[0:1]
	s_cbranch_execnz .LBB6_2
.LBB6_3:
	s_endpgm
	.section	.rodata,"a",@progbits
	.p2align	6, 0x0
	.amdhsa_kernel _ZN4vllm22copy_blocks_mla_kernelIN3c108BFloat16EEEvPlPKli
		.amdhsa_group_segment_fixed_size 0
		.amdhsa_private_segment_fixed_size 0
		.amdhsa_kernarg_size 280
		.amdhsa_user_sgpr_count 6
		.amdhsa_user_sgpr_private_segment_buffer 1
		.amdhsa_user_sgpr_dispatch_ptr 0
		.amdhsa_user_sgpr_queue_ptr 0
		.amdhsa_user_sgpr_kernarg_segment_ptr 1
		.amdhsa_user_sgpr_dispatch_id 0
		.amdhsa_user_sgpr_flat_scratch_init 0
		.amdhsa_user_sgpr_private_segment_size 0
		.amdhsa_uses_dynamic_stack 0
		.amdhsa_system_sgpr_private_segment_wavefront_offset 0
		.amdhsa_system_sgpr_workgroup_id_x 1
		.amdhsa_system_sgpr_workgroup_id_y 1
		.amdhsa_system_sgpr_workgroup_id_z 0
		.amdhsa_system_sgpr_workgroup_info 0
		.amdhsa_system_vgpr_workitem_id 0
		.amdhsa_next_free_vgpr 8
		.amdhsa_next_free_sgpr 16
		.amdhsa_reserve_vcc 1
		.amdhsa_reserve_flat_scratch 0
		.amdhsa_float_round_mode_32 0
		.amdhsa_float_round_mode_16_64 0
		.amdhsa_float_denorm_mode_32 3
		.amdhsa_float_denorm_mode_16_64 3
		.amdhsa_dx10_clamp 1
		.amdhsa_ieee_mode 1
		.amdhsa_fp16_overflow 0
		.amdhsa_exception_fp_ieee_invalid_op 0
		.amdhsa_exception_fp_denorm_src 0
		.amdhsa_exception_fp_ieee_div_zero 0
		.amdhsa_exception_fp_ieee_overflow 0
		.amdhsa_exception_fp_ieee_underflow 0
		.amdhsa_exception_fp_ieee_inexact 0
		.amdhsa_exception_int_div_zero 0
	.end_amdhsa_kernel
	.section	.text._ZN4vllm22copy_blocks_mla_kernelIN3c108BFloat16EEEvPlPKli,"axG",@progbits,_ZN4vllm22copy_blocks_mla_kernelIN3c108BFloat16EEEvPlPKli,comdat
.Lfunc_end6:
	.size	_ZN4vllm22copy_blocks_mla_kernelIN3c108BFloat16EEEvPlPKli, .Lfunc_end6-_ZN4vllm22copy_blocks_mla_kernelIN3c108BFloat16EEEvPlPKli
                                        ; -- End function
	.set _ZN4vllm22copy_blocks_mla_kernelIN3c108BFloat16EEEvPlPKli.num_vgpr, 8
	.set _ZN4vllm22copy_blocks_mla_kernelIN3c108BFloat16EEEvPlPKli.num_agpr, 0
	.set _ZN4vllm22copy_blocks_mla_kernelIN3c108BFloat16EEEvPlPKli.numbered_sgpr, 16
	.set _ZN4vllm22copy_blocks_mla_kernelIN3c108BFloat16EEEvPlPKli.num_named_barrier, 0
	.set _ZN4vllm22copy_blocks_mla_kernelIN3c108BFloat16EEEvPlPKli.private_seg_size, 0
	.set _ZN4vllm22copy_blocks_mla_kernelIN3c108BFloat16EEEvPlPKli.uses_vcc, 1
	.set _ZN4vllm22copy_blocks_mla_kernelIN3c108BFloat16EEEvPlPKli.uses_flat_scratch, 0
	.set _ZN4vllm22copy_blocks_mla_kernelIN3c108BFloat16EEEvPlPKli.has_dyn_sized_stack, 0
	.set _ZN4vllm22copy_blocks_mla_kernelIN3c108BFloat16EEEvPlPKli.has_recursion, 0
	.set _ZN4vllm22copy_blocks_mla_kernelIN3c108BFloat16EEEvPlPKli.has_indirect_call, 0
	.section	.AMDGPU.csdata,"",@progbits
; Kernel info:
; codeLenInByte = 252
; TotalNumSgprs: 20
; NumVgprs: 8
; ScratchSize: 0
; MemoryBound: 0
; FloatMode: 240
; IeeeMode: 1
; LDSByteSize: 0 bytes/workgroup (compile time only)
; SGPRBlocks: 2
; VGPRBlocks: 1
; NumSGPRsForWavesPerEU: 20
; NumVGPRsForWavesPerEU: 8
; Occupancy: 10
; WaveLimiterHint : 1
; COMPUTE_PGM_RSRC2:SCRATCH_EN: 0
; COMPUTE_PGM_RSRC2:USER_SGPR: 6
; COMPUTE_PGM_RSRC2:TRAP_HANDLER: 0
; COMPUTE_PGM_RSRC2:TGID_X_EN: 1
; COMPUTE_PGM_RSRC2:TGID_Y_EN: 1
; COMPUTE_PGM_RSRC2:TGID_Z_EN: 0
; COMPUTE_PGM_RSRC2:TIDIG_COMP_CNT: 0
	.section	.text._ZN4vllm22copy_blocks_mla_kernelIhEEvPlPKli,"axG",@progbits,_ZN4vllm22copy_blocks_mla_kernelIhEEvPlPKli,comdat
	.protected	_ZN4vllm22copy_blocks_mla_kernelIhEEvPlPKli ; -- Begin function _ZN4vllm22copy_blocks_mla_kernelIhEEvPlPKli
	.globl	_ZN4vllm22copy_blocks_mla_kernelIhEEvPlPKli
	.p2align	8
	.type	_ZN4vllm22copy_blocks_mla_kernelIhEEvPlPKli,@function
_ZN4vllm22copy_blocks_mla_kernelIhEEvPlPKli: ; @_ZN4vllm22copy_blocks_mla_kernelIhEEvPlPKli
; %bb.0:
	s_load_dword s8, s[4:5], 0x10
	s_waitcnt lgkmcnt(0)
	v_cmp_gt_i32_e32 vcc, s8, v0
	s_and_saveexec_b64 s[0:1], vcc
	s_cbranch_execz .LBB7_3
; %bb.1:
	s_load_dwordx4 s[0:3], s[4:5], 0x0
	s_load_dword s9, s[4:5], 0x24
	s_lshl_b32 s10, s7, 1
	s_ashr_i32 s11, s10, 31
	s_lshl_b64 s[4:5], s[10:11], 3
	s_waitcnt lgkmcnt(0)
	s_add_u32 s2, s2, s4
	s_addc_u32 s3, s3, s5
	s_load_dwordx4 s[12:15], s[2:3], 0x0
	s_ashr_i32 s7, s6, 31
	s_waitcnt lgkmcnt(0)
	s_mul_i32 s2, s15, s8
	s_mul_hi_u32 s3, s14, s8
	s_mul_i32 s4, s13, s8
	s_mul_hi_u32 s5, s12, s8
	s_add_i32 s10, s3, s2
	s_add_i32 s5, s5, s4
	s_lshl_b64 s[2:3], s[6:7], 3
	s_add_u32 s0, s0, s2
	s_addc_u32 s1, s1, s3
	s_load_dwordx2 s[0:1], s[0:1], 0x0
	s_mul_i32 s2, s12, s8
	s_mul_i32 s3, s14, s8
	s_waitcnt lgkmcnt(0)
	s_add_u32 s2, s0, s2
	s_addc_u32 s5, s1, s5
	s_add_u32 s3, s0, s3
	s_addc_u32 s6, s1, s10
	s_and_b32 s4, s9, 0xffff
	s_mov_b64 s[0:1], 0
	v_mov_b32_e32 v1, s5
	v_mov_b32_e32 v2, s6
.LBB7_2:                                ; =>This Inner Loop Header: Depth=1
	v_ashrrev_i32_e32 v5, 31, v0
	v_add_co_u32_e32 v3, vcc, s2, v0
	v_addc_co_u32_e32 v4, vcc, v1, v5, vcc
	flat_load_ubyte v6, v[3:4]
	v_add_co_u32_e32 v3, vcc, s3, v0
	v_add_u32_e32 v0, s4, v0
	v_addc_co_u32_e32 v4, vcc, v2, v5, vcc
	v_cmp_le_i32_e32 vcc, s8, v0
	s_or_b64 s[0:1], vcc, s[0:1]
	s_waitcnt vmcnt(0) lgkmcnt(0)
	flat_store_byte v[3:4], v6
	s_andn2_b64 exec, exec, s[0:1]
	s_cbranch_execnz .LBB7_2
.LBB7_3:
	s_endpgm
	.section	.rodata,"a",@progbits
	.p2align	6, 0x0
	.amdhsa_kernel _ZN4vllm22copy_blocks_mla_kernelIhEEvPlPKli
		.amdhsa_group_segment_fixed_size 0
		.amdhsa_private_segment_fixed_size 0
		.amdhsa_kernarg_size 280
		.amdhsa_user_sgpr_count 6
		.amdhsa_user_sgpr_private_segment_buffer 1
		.amdhsa_user_sgpr_dispatch_ptr 0
		.amdhsa_user_sgpr_queue_ptr 0
		.amdhsa_user_sgpr_kernarg_segment_ptr 1
		.amdhsa_user_sgpr_dispatch_id 0
		.amdhsa_user_sgpr_flat_scratch_init 0
		.amdhsa_user_sgpr_private_segment_size 0
		.amdhsa_uses_dynamic_stack 0
		.amdhsa_system_sgpr_private_segment_wavefront_offset 0
		.amdhsa_system_sgpr_workgroup_id_x 1
		.amdhsa_system_sgpr_workgroup_id_y 1
		.amdhsa_system_sgpr_workgroup_id_z 0
		.amdhsa_system_sgpr_workgroup_info 0
		.amdhsa_system_vgpr_workitem_id 0
		.amdhsa_next_free_vgpr 7
		.amdhsa_next_free_sgpr 16
		.amdhsa_reserve_vcc 1
		.amdhsa_reserve_flat_scratch 0
		.amdhsa_float_round_mode_32 0
		.amdhsa_float_round_mode_16_64 0
		.amdhsa_float_denorm_mode_32 3
		.amdhsa_float_denorm_mode_16_64 3
		.amdhsa_dx10_clamp 1
		.amdhsa_ieee_mode 1
		.amdhsa_fp16_overflow 0
		.amdhsa_exception_fp_ieee_invalid_op 0
		.amdhsa_exception_fp_denorm_src 0
		.amdhsa_exception_fp_ieee_div_zero 0
		.amdhsa_exception_fp_ieee_overflow 0
		.amdhsa_exception_fp_ieee_underflow 0
		.amdhsa_exception_fp_ieee_inexact 0
		.amdhsa_exception_int_div_zero 0
	.end_amdhsa_kernel
	.section	.text._ZN4vllm22copy_blocks_mla_kernelIhEEvPlPKli,"axG",@progbits,_ZN4vllm22copy_blocks_mla_kernelIhEEvPlPKli,comdat
.Lfunc_end7:
	.size	_ZN4vllm22copy_blocks_mla_kernelIhEEvPlPKli, .Lfunc_end7-_ZN4vllm22copy_blocks_mla_kernelIhEEvPlPKli
                                        ; -- End function
	.set _ZN4vllm22copy_blocks_mla_kernelIhEEvPlPKli.num_vgpr, 7
	.set _ZN4vllm22copy_blocks_mla_kernelIhEEvPlPKli.num_agpr, 0
	.set _ZN4vllm22copy_blocks_mla_kernelIhEEvPlPKli.numbered_sgpr, 16
	.set _ZN4vllm22copy_blocks_mla_kernelIhEEvPlPKli.num_named_barrier, 0
	.set _ZN4vllm22copy_blocks_mla_kernelIhEEvPlPKli.private_seg_size, 0
	.set _ZN4vllm22copy_blocks_mla_kernelIhEEvPlPKli.uses_vcc, 1
	.set _ZN4vllm22copy_blocks_mla_kernelIhEEvPlPKli.uses_flat_scratch, 0
	.set _ZN4vllm22copy_blocks_mla_kernelIhEEvPlPKli.has_dyn_sized_stack, 0
	.set _ZN4vllm22copy_blocks_mla_kernelIhEEvPlPKli.has_recursion, 0
	.set _ZN4vllm22copy_blocks_mla_kernelIhEEvPlPKli.has_indirect_call, 0
	.section	.AMDGPU.csdata,"",@progbits
; Kernel info:
; codeLenInByte = 236
; TotalNumSgprs: 20
; NumVgprs: 7
; ScratchSize: 0
; MemoryBound: 0
; FloatMode: 240
; IeeeMode: 1
; LDSByteSize: 0 bytes/workgroup (compile time only)
; SGPRBlocks: 2
; VGPRBlocks: 1
; NumSGPRsForWavesPerEU: 20
; NumVGPRsForWavesPerEU: 7
; Occupancy: 10
; WaveLimiterHint : 1
; COMPUTE_PGM_RSRC2:SCRATCH_EN: 0
; COMPUTE_PGM_RSRC2:USER_SGPR: 6
; COMPUTE_PGM_RSRC2:TRAP_HANDLER: 0
; COMPUTE_PGM_RSRC2:TGID_X_EN: 1
; COMPUTE_PGM_RSRC2:TGID_Y_EN: 1
; COMPUTE_PGM_RSRC2:TGID_Z_EN: 0
; COMPUTE_PGM_RSRC2:TIDIG_COMP_CNT: 0
	.section	.text._ZN4vllm24reshape_and_cache_kernelIffLNS_18Fp8KVCacheDataTypeE0EEEvPKT_S4_PT0_S6_PKliiiiiiPKfSA_,"axG",@progbits,_ZN4vllm24reshape_and_cache_kernelIffLNS_18Fp8KVCacheDataTypeE0EEEvPKT_S4_PT0_S6_PKliiiiiiPKfSA_,comdat
	.protected	_ZN4vllm24reshape_and_cache_kernelIffLNS_18Fp8KVCacheDataTypeE0EEEvPKT_S4_PT0_S6_PKliiiiiiPKfSA_ ; -- Begin function _ZN4vllm24reshape_and_cache_kernelIffLNS_18Fp8KVCacheDataTypeE0EEEvPKT_S4_PT0_S6_PKliiiiiiPKfSA_
	.globl	_ZN4vllm24reshape_and_cache_kernelIffLNS_18Fp8KVCacheDataTypeE0EEEvPKT_S4_PT0_S6_PKliiiiiiPKfSA_
	.p2align	8
	.type	_ZN4vllm24reshape_and_cache_kernelIffLNS_18Fp8KVCacheDataTypeE0EEEvPKT_S4_PT0_S6_PKliiiiiiPKfSA_,@function
_ZN4vllm24reshape_and_cache_kernelIffLNS_18Fp8KVCacheDataTypeE0EEEvPKT_S4_PT0_S6_PKliiiiiiPKfSA_: ; @_ZN4vllm24reshape_and_cache_kernelIffLNS_18Fp8KVCacheDataTypeE0EEEvPKT_S4_PT0_S6_PKliiiiiiPKfSA_
; %bb.0:
	s_load_dwordx2 s[0:1], s[4:5], 0x20
	s_mov_b32 s7, 0
	s_lshl_b64 s[2:3], s[6:7], 3
	s_waitcnt lgkmcnt(0)
	s_add_u32 s0, s0, s2
	s_addc_u32 s1, s1, s3
	s_load_dwordx2 s[18:19], s[0:1], 0x0
	s_waitcnt lgkmcnt(0)
	v_cmp_lt_i64_e64 s[0:1], s[18:19], 0
	s_and_b64 vcc, exec, s[0:1]
	s_cbranch_vccnz .LBB8_7
; %bb.1:
	s_load_dwordx2 s[16:17], s[4:5], 0x38
	s_load_dwordx4 s[0:3], s[4:5], 0x28
	s_waitcnt lgkmcnt(0)
	s_ashr_i32 s21, s16, 31
	s_mov_b32 s20, s16
	s_or_b64 s[8:9], s[18:19], s[20:21]
	s_mov_b32 s8, s7
	s_cmp_lg_u64 s[8:9], 0
	s_cbranch_scc0 .LBB8_8
; %bb.2:
	s_ashr_i32 s8, s21, 31
	s_add_u32 s10, s20, s8
	s_mov_b32 s9, s8
	s_addc_u32 s11, s21, s8
	s_xor_b64 s[12:13], s[10:11], s[8:9]
	v_cvt_f32_u32_e32 v1, s12
	v_cvt_f32_u32_e32 v2, s13
	s_sub_u32 s7, 0, s12
	s_subb_u32 s22, 0, s13
	v_madmk_f32 v1, v2, 0x4f800000, v1
	v_rcp_f32_e32 v1, v1
	v_mul_f32_e32 v1, 0x5f7ffffc, v1
	v_mul_f32_e32 v2, 0x2f800000, v1
	v_trunc_f32_e32 v2, v2
	v_madmk_f32 v1, v2, 0xcf800000, v1
	v_cvt_u32_f32_e32 v2, v2
	v_cvt_u32_f32_e32 v1, v1
	v_readfirstlane_b32 s23, v2
	v_readfirstlane_b32 s14, v1
	s_mul_i32 s15, s7, s23
	s_mul_hi_u32 s25, s7, s14
	s_mul_i32 s24, s22, s14
	s_add_i32 s15, s25, s15
	s_add_i32 s15, s15, s24
	s_mul_i32 s26, s7, s14
	s_mul_i32 s25, s14, s15
	s_mul_hi_u32 s27, s14, s26
	s_mul_hi_u32 s24, s14, s15
	s_add_u32 s25, s27, s25
	s_addc_u32 s24, 0, s24
	s_mul_hi_u32 s28, s23, s26
	s_mul_i32 s26, s23, s26
	s_add_u32 s25, s25, s26
	s_mul_hi_u32 s27, s23, s15
	s_addc_u32 s24, s24, s28
	s_addc_u32 s25, s27, 0
	s_mul_i32 s15, s23, s15
	s_add_u32 s15, s24, s15
	s_addc_u32 s24, 0, s25
	s_add_u32 s25, s14, s15
	s_cselect_b64 s[14:15], -1, 0
	s_cmp_lg_u64 s[14:15], 0
	s_addc_u32 s23, s23, s24
	s_mul_i32 s14, s7, s23
	s_mul_hi_u32 s15, s7, s25
	s_add_i32 s14, s15, s14
	s_mul_i32 s22, s22, s25
	s_add_i32 s14, s14, s22
	s_mul_i32 s7, s7, s25
	s_mul_hi_u32 s22, s23, s7
	s_mul_i32 s24, s23, s7
	s_mul_i32 s27, s25, s14
	s_mul_hi_u32 s7, s25, s7
	s_mul_hi_u32 s26, s25, s14
	s_add_u32 s7, s7, s27
	s_addc_u32 s26, 0, s26
	s_add_u32 s7, s7, s24
	s_mul_hi_u32 s15, s23, s14
	s_addc_u32 s7, s26, s22
	s_addc_u32 s15, s15, 0
	s_mul_i32 s14, s23, s14
	s_add_u32 s7, s7, s14
	s_addc_u32 s22, 0, s15
	s_add_u32 s7, s25, s7
	s_cselect_b64 s[14:15], -1, 0
	s_cmp_lg_u64 s[14:15], 0
	s_addc_u32 s24, s23, s22
	s_ashr_i32 s14, s19, 31
	s_add_u32 s22, s18, s14
	s_mov_b32 s15, s14
	s_addc_u32 s23, s19, s14
	s_xor_b64 s[22:23], s[22:23], s[14:15]
	s_mul_i32 s26, s22, s24
	s_mul_hi_u32 s27, s22, s7
	s_mul_hi_u32 s25, s22, s24
	s_add_u32 s26, s27, s26
	s_addc_u32 s25, 0, s25
	s_mul_hi_u32 s28, s23, s7
	s_mul_i32 s7, s23, s7
	s_add_u32 s7, s26, s7
	s_mul_hi_u32 s27, s23, s24
	s_addc_u32 s7, s25, s28
	s_addc_u32 s25, s27, 0
	s_mul_i32 s24, s23, s24
	s_add_u32 s7, s7, s24
	s_addc_u32 s28, 0, s25
	s_mul_i32 s24, s12, s28
	s_mul_hi_u32 s25, s12, s7
	s_add_i32 s24, s25, s24
	s_mul_i32 s25, s13, s7
	s_add_i32 s29, s24, s25
	s_sub_i32 s26, s23, s29
	s_mul_i32 s24, s12, s7
	s_sub_u32 s22, s22, s24
	s_cselect_b64 s[24:25], -1, 0
	s_cmp_lg_u64 s[24:25], 0
	s_subb_u32 s30, s26, s13
	s_sub_u32 s31, s22, s12
	s_cselect_b64 s[26:27], -1, 0
	s_cmp_lg_u64 s[26:27], 0
	s_subb_u32 s26, s30, 0
	s_cmp_ge_u32 s26, s13
	s_cselect_b32 s27, -1, 0
	s_cmp_ge_u32 s31, s12
	s_cselect_b32 s30, -1, 0
	s_cmp_eq_u32 s26, s13
	s_cselect_b32 s26, s30, s27
	s_add_u32 s27, s7, 1
	s_addc_u32 s30, s28, 0
	s_add_u32 s31, s7, 2
	s_addc_u32 s33, s28, 0
	s_cmp_lg_u32 s26, 0
	s_cselect_b32 s26, s31, s27
	s_cselect_b32 s27, s33, s30
	s_cmp_lg_u64 s[24:25], 0
	s_subb_u32 s23, s23, s29
	s_cmp_ge_u32 s23, s13
	s_cselect_b32 s24, -1, 0
	s_cmp_ge_u32 s22, s12
	s_cselect_b32 s12, -1, 0
	s_cmp_eq_u32 s23, s13
	s_cselect_b32 s12, s12, s24
	s_cmp_lg_u32 s12, 0
	s_cselect_b32 s13, s27, s28
	s_cselect_b32 s12, s26, s7
	s_xor_b64 s[8:9], s[14:15], s[8:9]
	s_xor_b64 s[12:13], s[12:13], s[8:9]
	s_sub_u32 s22, s12, s8
	s_subb_u32 s23, s13, s9
	s_cbranch_execnz .LBB8_4
.LBB8_3:
	v_cvt_f32_u32_e32 v1, s20
	s_sub_i32 s7, 0, s20
	s_mov_b32 s23, 0
	v_rcp_iflag_f32_e32 v1, v1
	v_mul_f32_e32 v1, 0x4f7ffffe, v1
	v_cvt_u32_f32_e32 v1, v1
	v_readfirstlane_b32 s8, v1
	s_mul_i32 s7, s7, s8
	s_mul_hi_u32 s7, s8, s7
	s_add_i32 s8, s8, s7
	s_mul_hi_u32 s7, s18, s8
	s_mul_i32 s9, s7, s20
	s_sub_i32 s9, s18, s9
	s_add_i32 s8, s7, 1
	s_sub_i32 s10, s9, s20
	s_cmp_ge_u32 s9, s20
	s_cselect_b32 s7, s8, s7
	s_cselect_b32 s9, s10, s9
	s_add_i32 s8, s7, 1
	s_cmp_ge_u32 s9, s20
	s_cselect_b32 s22, s8, s7
.LBB8_4:
	s_mul_i32 s24, s3, s2
	v_cmp_gt_i32_e32 vcc, s24, v0
	s_and_saveexec_b64 s[8:9], vcc
	s_cbranch_execz .LBB8_7
; %bb.5:
	s_mul_i32 s7, s22, s21
	s_mul_hi_u32 s21, s22, s20
	s_add_i32 s7, s21, s7
	s_mul_i32 s21, s23, s20
	s_add_i32 s28, s7, s21
	s_mul_i32 s29, s22, s20
	s_sub_u32 s18, s18, s29
	s_subb_u32 s19, s19, s28
	s_ashr_i32 s7, s0, 31
	s_mul_hi_u32 s20, s0, s6
	s_mul_i32 s7, s7, s6
	s_add_i32 s27, s20, s7
	s_abs_i32 s20, s17
	v_cvt_f32_u32_e32 v1, s20
	s_sub_i32 s25, 0, s20
	s_abs_i32 s23, s3
	s_mul_i32 s26, s0, s6
	v_rcp_iflag_f32_e32 v1, v1
	s_ashr_i32 s0, s1, 31
	s_mul_hi_u32 s7, s1, s6
	s_mul_i32 s0, s0, s6
	v_mul_f32_e32 v1, 0x4f7ffffe, v1
	v_cvt_u32_f32_e32 v1, v1
	s_ashr_i32 s21, s3, 31
	s_ashr_i32 s22, s17, 31
	s_add_i32 s7, s7, s0
	v_readfirstlane_b32 s30, v1
	s_mul_i32 s25, s25, s30
	s_mul_hi_u32 s25, s30, s25
	s_add_i32 s25, s30, s25
	s_mul_hi_u32 s30, s23, s25
	s_mul_i32 s31, s30, s20
	s_sub_i32 s31, s23, s31
	s_mul_i32 s6, s1, s6
	s_ashr_i32 s0, s2, 31
	s_xor_b32 s1, s21, s22
	s_add_i32 s33, s30, 1
	s_sub_i32 s34, s31, s20
	s_cmp_ge_u32 s31, s20
	s_cselect_b32 s30, s33, s30
	s_cselect_b32 s31, s34, s31
	s_add_i32 s33, s30, 1
	s_cmp_ge_u32 s31, s20
	s_cselect_b32 s30, s33, s30
	s_xor_b32 s30, s30, s1
	s_sub_i32 s33, s30, s1
	s_mul_i32 s0, s29, s0
	s_mul_hi_u32 s30, s29, s2
	s_mul_i32 s28, s28, s2
	s_add_i32 s0, s30, s0
	s_mul_i32 s2, s29, s2
	s_add_i32 s28, s0, s28
	s_mul_i32 s29, s2, s22
	s_mul_hi_u32 s30, s2, s17
	s_mul_i32 s0, s28, s17
	s_add_i32 s29, s30, s29
	s_ashr_i32 s1, s33, 31
	s_add_i32 s0, s29, s0
	s_mul_i32 s29, s2, s17
	s_mul_i32 s1, s29, s1
	s_mul_hi_u32 s30, s29, s33
	s_add_i32 s1, s30, s1
	s_mul_i32 s0, s0, s33
	s_load_dwordx8 s[8:15], s[4:5], 0x0
	s_add_i32 s1, s1, s0
	s_mul_i32 s0, s29, s33
	s_mul_i32 s29, s18, s22
	s_mul_hi_u32 s30, s18, s17
	v_cvt_f32_u32_e32 v1, s23
	s_add_i32 s29, s30, s29
	s_mul_i32 s30, s19, s17
	s_add_i32 s29, s29, s30
	s_mul_i32 s30, s2, s21
	s_mul_hi_u32 s31, s2, s3
	s_mul_i32 s28, s28, s3
	s_add_i32 s30, s31, s30
	s_add_i32 s31, s30, s28
	s_lshl_b64 s[26:27], s[26:27], 2
	v_rcp_iflag_f32_e32 v1, v1
	s_mul_i32 s30, s2, s3
	s_waitcnt lgkmcnt(0)
	s_add_u32 s2, s8, s26
	s_addc_u32 s8, s9, s27
	s_lshl_b64 s[6:7], s[6:7], 2
	s_add_u32 s10, s10, s6
	s_addc_u32 s6, s11, s7
	s_lshl_b64 s[0:1], s[0:1], 2
	v_mul_f32_e32 v1, 0x4f7ffffe, v1
	s_add_u32 s11, s12, s0
	v_cvt_u32_f32_e32 v1, v1
	s_addc_u32 s7, s13, s1
	s_lshl_b64 s[0:1], s[30:31], 2
	s_add_u32 s12, s14, s0
	s_addc_u32 s0, s15, s1
	s_sub_i32 s1, 0, s23
	v_mul_lo_u32 v2, s1, v1
	s_load_dword s1, s[4:5], 0x5c
	s_mul_i32 s28, s18, s17
	s_mul_i32 s13, s17, s16
	v_mul_hi_u32 v2, v1, v2
	v_mov_b32_e32 v3, s8
	v_mov_b32_e32 v4, s6
	v_mov_b32_e32 v5, s7
	s_lshl_b64 s[6:7], s[28:29], 2
	s_lshl_b64 s[8:9], s[18:19], 2
	s_mul_i32 s14, s13, s33
	s_waitcnt lgkmcnt(0)
	s_and_b32 s15, s1, 0xffff
	v_add_u32_e32 v2, v1, v2
	s_sub_i32 s26, 0, s3
	s_sub_i32 s17, 0, s17
	s_mov_b64 s[4:5], 0
	v_mov_b32_e32 v6, s7
	v_mov_b32_e32 v7, s0
	;; [unrolled: 1-line block ×3, first 2 shown]
.LBB8_6:                                ; =>This Inner Loop Header: Depth=1
	v_sub_u32_e32 v1, 0, v0
	v_max_i32_e32 v11, v0, v1
	v_mul_hi_u32 v12, v11, v2
	v_ashrrev_i32_e32 v1, 31, v0
	v_lshlrev_b64 v[9:10], 2, v[0:1]
	v_xor_b32_e32 v14, s21, v1
	v_mul_lo_u32 v13, v12, s23
	v_add_u32_e32 v15, 1, v12
	v_sub_u32_e32 v13, v11, v13
	v_cmp_le_u32_e32 vcc, s23, v13
	v_add_co_u32_e64 v11, s[0:1], s2, v9
	v_cndmask_b32_e32 v15, v12, v15, vcc
	v_addc_co_u32_e64 v12, s[0:1], v3, v10, s[0:1]
	global_load_dword v16, v[11:12], off
	v_subrev_u32_e32 v11, s23, v13
	v_cndmask_b32_e32 v11, v13, v11, vcc
	v_add_u32_e32 v12, 1, v15
	v_cmp_le_u32_e32 vcc, s23, v11
	v_cndmask_b32_e32 v11, v15, v12, vcc
	v_add_co_u32_e32 v9, vcc, s10, v9
	v_addc_co_u32_e32 v10, vcc, v4, v10, vcc
	global_load_dword v17, v[9:10], off
	v_xor_b32_e32 v11, v11, v14
	v_sub_u32_e32 v11, v11, v14
	v_mad_u64_u32 v[9:10], s[0:1], s26, v11, v[0:1]
	v_mul_lo_u32 v1, v11, s3
	v_ashrrev_i32_e32 v10, 31, v9
	v_sub_u32_e32 v12, v10, v1
	v_add_u32_e32 v12, v0, v12
	v_xor_b32_e32 v12, v12, v10
	v_mul_hi_u32 v13, v12, s25
	v_xor_b32_e32 v10, s22, v10
	v_add_u32_e32 v0, s15, v0
	v_mul_lo_u32 v14, v13, s20
	v_sub_u32_e32 v12, v12, v14
	v_add_u32_e32 v14, 1, v13
	v_cmp_le_u32_e32 vcc, s20, v12
	v_cndmask_b32_e32 v13, v13, v14, vcc
	v_subrev_u32_e32 v14, s20, v12
	v_cndmask_b32_e32 v12, v12, v14, vcc
	v_add_u32_e32 v14, 1, v13
	v_cmp_le_u32_e32 vcc, s20, v12
	v_cndmask_b32_e32 v12, v13, v14, vcc
	v_xor_b32_e32 v12, v12, v10
	v_sub_u32_e32 v14, v12, v10
	v_mul_lo_u32 v10, s14, v11
	v_mul_lo_u32 v12, s13, v14
	v_ashrrev_i32_e32 v11, 31, v10
	v_lshlrev_b64 v[10:11], 2, v[10:11]
	v_ashrrev_i32_e32 v13, 31, v12
	v_add_co_u32_e32 v15, vcc, s11, v10
	v_mul_lo_u32 v10, v1, s16
	v_addc_co_u32_e32 v18, vcc, v5, v11, vcc
	v_lshlrev_b64 v[11:12], 2, v[12:13]
	v_add_co_u32_e32 v1, vcc, v15, v11
	v_ashrrev_i32_e32 v11, 31, v10
	v_lshlrev_b64 v[10:11], 2, v[10:11]
	v_addc_co_u32_e32 v18, vcc, v18, v12, vcc
	v_mad_u64_u32 v[14:15], s[0:1], s17, v14, v[9:10]
	v_add_co_u32_e32 v19, vcc, s12, v10
	v_mul_lo_u32 v12, v9, s16
	v_addc_co_u32_e32 v11, vcc, v7, v11, vcc
	v_ashrrev_i32_e32 v15, 31, v14
	v_lshlrev_b64 v[9:10], 2, v[14:15]
	v_add_co_u32_e32 v1, vcc, s6, v1
	v_addc_co_u32_e32 v14, vcc, v18, v6, vcc
	v_add_co_u32_e32 v9, vcc, v1, v9
	v_ashrrev_i32_e32 v13, 31, v12
	v_addc_co_u32_e32 v10, vcc, v14, v10, vcc
	s_waitcnt vmcnt(1)
	global_store_dword v[9:10], v16, off
	v_lshlrev_b64 v[9:10], 2, v[12:13]
	v_add_co_u32_e32 v1, vcc, v19, v9
	v_addc_co_u32_e32 v10, vcc, v11, v10, vcc
	v_add_co_u32_e32 v9, vcc, s8, v1
	v_addc_co_u32_e32 v10, vcc, v10, v8, vcc
	v_cmp_le_i32_e32 vcc, s24, v0
	s_or_b64 s[4:5], vcc, s[4:5]
	s_waitcnt vmcnt(1)
	global_store_dword v[9:10], v17, off
	s_andn2_b64 exec, exec, s[4:5]
	s_cbranch_execnz .LBB8_6
.LBB8_7:
	s_endpgm
.LBB8_8:
                                        ; implicit-def: $sgpr22_sgpr23
	s_branch .LBB8_3
	.section	.rodata,"a",@progbits
	.p2align	6, 0x0
	.amdhsa_kernel _ZN4vllm24reshape_and_cache_kernelIffLNS_18Fp8KVCacheDataTypeE0EEEvPKT_S4_PT0_S6_PKliiiiiiPKfSA_
		.amdhsa_group_segment_fixed_size 0
		.amdhsa_private_segment_fixed_size 0
		.amdhsa_kernarg_size 336
		.amdhsa_user_sgpr_count 6
		.amdhsa_user_sgpr_private_segment_buffer 1
		.amdhsa_user_sgpr_dispatch_ptr 0
		.amdhsa_user_sgpr_queue_ptr 0
		.amdhsa_user_sgpr_kernarg_segment_ptr 1
		.amdhsa_user_sgpr_dispatch_id 0
		.amdhsa_user_sgpr_flat_scratch_init 0
		.amdhsa_user_sgpr_private_segment_size 0
		.amdhsa_uses_dynamic_stack 0
		.amdhsa_system_sgpr_private_segment_wavefront_offset 0
		.amdhsa_system_sgpr_workgroup_id_x 1
		.amdhsa_system_sgpr_workgroup_id_y 0
		.amdhsa_system_sgpr_workgroup_id_z 0
		.amdhsa_system_sgpr_workgroup_info 0
		.amdhsa_system_vgpr_workitem_id 0
		.amdhsa_next_free_vgpr 20
		.amdhsa_next_free_sgpr 35
		.amdhsa_reserve_vcc 1
		.amdhsa_reserve_flat_scratch 0
		.amdhsa_float_round_mode_32 0
		.amdhsa_float_round_mode_16_64 0
		.amdhsa_float_denorm_mode_32 3
		.amdhsa_float_denorm_mode_16_64 3
		.amdhsa_dx10_clamp 1
		.amdhsa_ieee_mode 1
		.amdhsa_fp16_overflow 0
		.amdhsa_exception_fp_ieee_invalid_op 0
		.amdhsa_exception_fp_denorm_src 0
		.amdhsa_exception_fp_ieee_div_zero 0
		.amdhsa_exception_fp_ieee_overflow 0
		.amdhsa_exception_fp_ieee_underflow 0
		.amdhsa_exception_fp_ieee_inexact 0
		.amdhsa_exception_int_div_zero 0
	.end_amdhsa_kernel
	.section	.text._ZN4vllm24reshape_and_cache_kernelIffLNS_18Fp8KVCacheDataTypeE0EEEvPKT_S4_PT0_S6_PKliiiiiiPKfSA_,"axG",@progbits,_ZN4vllm24reshape_and_cache_kernelIffLNS_18Fp8KVCacheDataTypeE0EEEvPKT_S4_PT0_S6_PKliiiiiiPKfSA_,comdat
.Lfunc_end8:
	.size	_ZN4vllm24reshape_and_cache_kernelIffLNS_18Fp8KVCacheDataTypeE0EEEvPKT_S4_PT0_S6_PKliiiiiiPKfSA_, .Lfunc_end8-_ZN4vllm24reshape_and_cache_kernelIffLNS_18Fp8KVCacheDataTypeE0EEEvPKT_S4_PT0_S6_PKliiiiiiPKfSA_
                                        ; -- End function
	.set _ZN4vllm24reshape_and_cache_kernelIffLNS_18Fp8KVCacheDataTypeE0EEEvPKT_S4_PT0_S6_PKliiiiiiPKfSA_.num_vgpr, 20
	.set _ZN4vllm24reshape_and_cache_kernelIffLNS_18Fp8KVCacheDataTypeE0EEEvPKT_S4_PT0_S6_PKliiiiiiPKfSA_.num_agpr, 0
	.set _ZN4vllm24reshape_and_cache_kernelIffLNS_18Fp8KVCacheDataTypeE0EEEvPKT_S4_PT0_S6_PKliiiiiiPKfSA_.numbered_sgpr, 35
	.set _ZN4vllm24reshape_and_cache_kernelIffLNS_18Fp8KVCacheDataTypeE0EEEvPKT_S4_PT0_S6_PKliiiiiiPKfSA_.num_named_barrier, 0
	.set _ZN4vllm24reshape_and_cache_kernelIffLNS_18Fp8KVCacheDataTypeE0EEEvPKT_S4_PT0_S6_PKliiiiiiPKfSA_.private_seg_size, 0
	.set _ZN4vllm24reshape_and_cache_kernelIffLNS_18Fp8KVCacheDataTypeE0EEEvPKT_S4_PT0_S6_PKliiiiiiPKfSA_.uses_vcc, 1
	.set _ZN4vllm24reshape_and_cache_kernelIffLNS_18Fp8KVCacheDataTypeE0EEEvPKT_S4_PT0_S6_PKliiiiiiPKfSA_.uses_flat_scratch, 0
	.set _ZN4vllm24reshape_and_cache_kernelIffLNS_18Fp8KVCacheDataTypeE0EEEvPKT_S4_PT0_S6_PKliiiiiiPKfSA_.has_dyn_sized_stack, 0
	.set _ZN4vllm24reshape_and_cache_kernelIffLNS_18Fp8KVCacheDataTypeE0EEEvPKT_S4_PT0_S6_PKliiiiiiPKfSA_.has_recursion, 0
	.set _ZN4vllm24reshape_and_cache_kernelIffLNS_18Fp8KVCacheDataTypeE0EEEvPKT_S4_PT0_S6_PKliiiiiiPKfSA_.has_indirect_call, 0
	.section	.AMDGPU.csdata,"",@progbits
; Kernel info:
; codeLenInByte = 1664
; TotalNumSgprs: 39
; NumVgprs: 20
; ScratchSize: 0
; MemoryBound: 0
; FloatMode: 240
; IeeeMode: 1
; LDSByteSize: 0 bytes/workgroup (compile time only)
; SGPRBlocks: 4
; VGPRBlocks: 4
; NumSGPRsForWavesPerEU: 39
; NumVGPRsForWavesPerEU: 20
; Occupancy: 10
; WaveLimiterHint : 1
; COMPUTE_PGM_RSRC2:SCRATCH_EN: 0
; COMPUTE_PGM_RSRC2:USER_SGPR: 6
; COMPUTE_PGM_RSRC2:TRAP_HANDLER: 0
; COMPUTE_PGM_RSRC2:TGID_X_EN: 1
; COMPUTE_PGM_RSRC2:TGID_Y_EN: 0
; COMPUTE_PGM_RSRC2:TGID_Z_EN: 0
; COMPUTE_PGM_RSRC2:TIDIG_COMP_CNT: 0
	.section	.text._ZN4vllm24reshape_and_cache_kernelIttLNS_18Fp8KVCacheDataTypeE0EEEvPKT_S4_PT0_S6_PKliiiiiiPKfSA_,"axG",@progbits,_ZN4vllm24reshape_and_cache_kernelIttLNS_18Fp8KVCacheDataTypeE0EEEvPKT_S4_PT0_S6_PKliiiiiiPKfSA_,comdat
	.protected	_ZN4vllm24reshape_and_cache_kernelIttLNS_18Fp8KVCacheDataTypeE0EEEvPKT_S4_PT0_S6_PKliiiiiiPKfSA_ ; -- Begin function _ZN4vllm24reshape_and_cache_kernelIttLNS_18Fp8KVCacheDataTypeE0EEEvPKT_S4_PT0_S6_PKliiiiiiPKfSA_
	.globl	_ZN4vllm24reshape_and_cache_kernelIttLNS_18Fp8KVCacheDataTypeE0EEEvPKT_S4_PT0_S6_PKliiiiiiPKfSA_
	.p2align	8
	.type	_ZN4vllm24reshape_and_cache_kernelIttLNS_18Fp8KVCacheDataTypeE0EEEvPKT_S4_PT0_S6_PKliiiiiiPKfSA_,@function
_ZN4vllm24reshape_and_cache_kernelIttLNS_18Fp8KVCacheDataTypeE0EEEvPKT_S4_PT0_S6_PKliiiiiiPKfSA_: ; @_ZN4vllm24reshape_and_cache_kernelIttLNS_18Fp8KVCacheDataTypeE0EEEvPKT_S4_PT0_S6_PKliiiiiiPKfSA_
; %bb.0:
	s_load_dwordx2 s[0:1], s[4:5], 0x20
	s_mov_b32 s7, 0
	s_lshl_b64 s[2:3], s[6:7], 3
	s_waitcnt lgkmcnt(0)
	s_add_u32 s0, s0, s2
	s_addc_u32 s1, s1, s3
	s_load_dwordx2 s[18:19], s[0:1], 0x0
	s_waitcnt lgkmcnt(0)
	v_cmp_lt_i64_e64 s[0:1], s[18:19], 0
	s_and_b64 vcc, exec, s[0:1]
	s_cbranch_vccnz .LBB9_7
; %bb.1:
	s_load_dwordx2 s[16:17], s[4:5], 0x38
	s_load_dwordx4 s[0:3], s[4:5], 0x28
	s_waitcnt lgkmcnt(0)
	s_ashr_i32 s21, s16, 31
	s_mov_b32 s20, s16
	s_or_b64 s[8:9], s[18:19], s[20:21]
	s_mov_b32 s8, s7
	s_cmp_lg_u64 s[8:9], 0
	s_cbranch_scc0 .LBB9_8
; %bb.2:
	s_ashr_i32 s8, s21, 31
	s_add_u32 s10, s20, s8
	s_mov_b32 s9, s8
	s_addc_u32 s11, s21, s8
	s_xor_b64 s[12:13], s[10:11], s[8:9]
	v_cvt_f32_u32_e32 v1, s12
	v_cvt_f32_u32_e32 v2, s13
	s_sub_u32 s7, 0, s12
	s_subb_u32 s22, 0, s13
	v_madmk_f32 v1, v2, 0x4f800000, v1
	v_rcp_f32_e32 v1, v1
	v_mul_f32_e32 v1, 0x5f7ffffc, v1
	v_mul_f32_e32 v2, 0x2f800000, v1
	v_trunc_f32_e32 v2, v2
	v_madmk_f32 v1, v2, 0xcf800000, v1
	v_cvt_u32_f32_e32 v2, v2
	v_cvt_u32_f32_e32 v1, v1
	v_readfirstlane_b32 s23, v2
	v_readfirstlane_b32 s14, v1
	s_mul_i32 s15, s7, s23
	s_mul_hi_u32 s25, s7, s14
	s_mul_i32 s24, s22, s14
	s_add_i32 s15, s25, s15
	s_add_i32 s15, s15, s24
	s_mul_i32 s26, s7, s14
	s_mul_i32 s25, s14, s15
	s_mul_hi_u32 s27, s14, s26
	s_mul_hi_u32 s24, s14, s15
	s_add_u32 s25, s27, s25
	s_addc_u32 s24, 0, s24
	s_mul_hi_u32 s28, s23, s26
	s_mul_i32 s26, s23, s26
	s_add_u32 s25, s25, s26
	s_mul_hi_u32 s27, s23, s15
	s_addc_u32 s24, s24, s28
	s_addc_u32 s25, s27, 0
	s_mul_i32 s15, s23, s15
	s_add_u32 s15, s24, s15
	s_addc_u32 s24, 0, s25
	s_add_u32 s25, s14, s15
	s_cselect_b64 s[14:15], -1, 0
	s_cmp_lg_u64 s[14:15], 0
	s_addc_u32 s23, s23, s24
	s_mul_i32 s14, s7, s23
	s_mul_hi_u32 s15, s7, s25
	s_add_i32 s14, s15, s14
	s_mul_i32 s22, s22, s25
	s_add_i32 s14, s14, s22
	s_mul_i32 s7, s7, s25
	s_mul_hi_u32 s22, s23, s7
	s_mul_i32 s24, s23, s7
	s_mul_i32 s27, s25, s14
	s_mul_hi_u32 s7, s25, s7
	s_mul_hi_u32 s26, s25, s14
	s_add_u32 s7, s7, s27
	s_addc_u32 s26, 0, s26
	s_add_u32 s7, s7, s24
	s_mul_hi_u32 s15, s23, s14
	s_addc_u32 s7, s26, s22
	s_addc_u32 s15, s15, 0
	s_mul_i32 s14, s23, s14
	s_add_u32 s7, s7, s14
	s_addc_u32 s22, 0, s15
	s_add_u32 s7, s25, s7
	s_cselect_b64 s[14:15], -1, 0
	s_cmp_lg_u64 s[14:15], 0
	s_addc_u32 s24, s23, s22
	s_ashr_i32 s14, s19, 31
	s_add_u32 s22, s18, s14
	s_mov_b32 s15, s14
	s_addc_u32 s23, s19, s14
	s_xor_b64 s[22:23], s[22:23], s[14:15]
	s_mul_i32 s26, s22, s24
	s_mul_hi_u32 s27, s22, s7
	s_mul_hi_u32 s25, s22, s24
	s_add_u32 s26, s27, s26
	s_addc_u32 s25, 0, s25
	s_mul_hi_u32 s28, s23, s7
	s_mul_i32 s7, s23, s7
	s_add_u32 s7, s26, s7
	s_mul_hi_u32 s27, s23, s24
	s_addc_u32 s7, s25, s28
	s_addc_u32 s25, s27, 0
	s_mul_i32 s24, s23, s24
	s_add_u32 s7, s7, s24
	s_addc_u32 s28, 0, s25
	s_mul_i32 s24, s12, s28
	s_mul_hi_u32 s25, s12, s7
	s_add_i32 s24, s25, s24
	s_mul_i32 s25, s13, s7
	s_add_i32 s29, s24, s25
	s_sub_i32 s26, s23, s29
	s_mul_i32 s24, s12, s7
	s_sub_u32 s22, s22, s24
	s_cselect_b64 s[24:25], -1, 0
	s_cmp_lg_u64 s[24:25], 0
	s_subb_u32 s30, s26, s13
	s_sub_u32 s31, s22, s12
	s_cselect_b64 s[26:27], -1, 0
	s_cmp_lg_u64 s[26:27], 0
	s_subb_u32 s26, s30, 0
	s_cmp_ge_u32 s26, s13
	s_cselect_b32 s27, -1, 0
	s_cmp_ge_u32 s31, s12
	s_cselect_b32 s30, -1, 0
	s_cmp_eq_u32 s26, s13
	s_cselect_b32 s26, s30, s27
	s_add_u32 s27, s7, 1
	s_addc_u32 s30, s28, 0
	s_add_u32 s31, s7, 2
	s_addc_u32 s33, s28, 0
	s_cmp_lg_u32 s26, 0
	s_cselect_b32 s26, s31, s27
	s_cselect_b32 s27, s33, s30
	s_cmp_lg_u64 s[24:25], 0
	s_subb_u32 s23, s23, s29
	s_cmp_ge_u32 s23, s13
	s_cselect_b32 s24, -1, 0
	s_cmp_ge_u32 s22, s12
	s_cselect_b32 s12, -1, 0
	s_cmp_eq_u32 s23, s13
	s_cselect_b32 s12, s12, s24
	s_cmp_lg_u32 s12, 0
	s_cselect_b32 s13, s27, s28
	s_cselect_b32 s12, s26, s7
	s_xor_b64 s[8:9], s[14:15], s[8:9]
	s_xor_b64 s[12:13], s[12:13], s[8:9]
	s_sub_u32 s22, s12, s8
	s_subb_u32 s23, s13, s9
	s_cbranch_execnz .LBB9_4
.LBB9_3:
	v_cvt_f32_u32_e32 v1, s20
	s_sub_i32 s7, 0, s20
	s_mov_b32 s23, 0
	v_rcp_iflag_f32_e32 v1, v1
	v_mul_f32_e32 v1, 0x4f7ffffe, v1
	v_cvt_u32_f32_e32 v1, v1
	v_readfirstlane_b32 s8, v1
	s_mul_i32 s7, s7, s8
	s_mul_hi_u32 s7, s8, s7
	s_add_i32 s8, s8, s7
	s_mul_hi_u32 s7, s18, s8
	s_mul_i32 s9, s7, s20
	s_sub_i32 s9, s18, s9
	s_add_i32 s8, s7, 1
	s_sub_i32 s10, s9, s20
	s_cmp_ge_u32 s9, s20
	s_cselect_b32 s7, s8, s7
	s_cselect_b32 s9, s10, s9
	s_add_i32 s8, s7, 1
	s_cmp_ge_u32 s9, s20
	s_cselect_b32 s22, s8, s7
.LBB9_4:
	s_mul_i32 s24, s3, s2
	v_cmp_gt_i32_e32 vcc, s24, v0
	s_and_saveexec_b64 s[8:9], vcc
	s_cbranch_execz .LBB9_7
; %bb.5:
	s_mul_i32 s7, s22, s21
	s_mul_hi_u32 s21, s22, s20
	s_add_i32 s7, s21, s7
	s_mul_i32 s21, s23, s20
	s_add_i32 s28, s7, s21
	s_mul_i32 s29, s22, s20
	s_sub_u32 s18, s18, s29
	s_subb_u32 s19, s19, s28
	s_ashr_i32 s7, s0, 31
	s_mul_hi_u32 s20, s0, s6
	s_mul_i32 s7, s7, s6
	s_add_i32 s27, s20, s7
	s_abs_i32 s20, s17
	v_cvt_f32_u32_e32 v1, s20
	s_sub_i32 s25, 0, s20
	s_abs_i32 s23, s3
	s_mul_i32 s26, s0, s6
	v_rcp_iflag_f32_e32 v1, v1
	s_ashr_i32 s0, s1, 31
	s_mul_hi_u32 s7, s1, s6
	s_mul_i32 s0, s0, s6
	v_mul_f32_e32 v1, 0x4f7ffffe, v1
	v_cvt_u32_f32_e32 v1, v1
	s_ashr_i32 s21, s3, 31
	s_ashr_i32 s22, s17, 31
	s_add_i32 s7, s7, s0
	v_readfirstlane_b32 s30, v1
	s_mul_i32 s25, s25, s30
	s_mul_hi_u32 s25, s30, s25
	s_add_i32 s25, s30, s25
	s_mul_hi_u32 s30, s23, s25
	s_mul_i32 s31, s30, s20
	s_sub_i32 s31, s23, s31
	s_mul_i32 s6, s1, s6
	s_ashr_i32 s0, s2, 31
	s_xor_b32 s1, s21, s22
	s_add_i32 s33, s30, 1
	s_sub_i32 s34, s31, s20
	s_cmp_ge_u32 s31, s20
	s_cselect_b32 s30, s33, s30
	s_cselect_b32 s31, s34, s31
	s_add_i32 s33, s30, 1
	s_cmp_ge_u32 s31, s20
	s_cselect_b32 s30, s33, s30
	s_xor_b32 s30, s30, s1
	s_sub_i32 s33, s30, s1
	s_mul_i32 s0, s29, s0
	s_mul_hi_u32 s30, s29, s2
	s_mul_i32 s28, s28, s2
	s_add_i32 s0, s30, s0
	s_mul_i32 s2, s29, s2
	s_add_i32 s28, s0, s28
	s_mul_i32 s29, s2, s22
	s_mul_hi_u32 s30, s2, s17
	s_mul_i32 s0, s28, s17
	s_add_i32 s29, s30, s29
	s_ashr_i32 s1, s33, 31
	s_add_i32 s0, s29, s0
	s_mul_i32 s29, s2, s17
	s_mul_i32 s1, s29, s1
	s_mul_hi_u32 s30, s29, s33
	s_add_i32 s1, s30, s1
	s_mul_i32 s0, s0, s33
	s_load_dwordx8 s[8:15], s[4:5], 0x0
	s_add_i32 s1, s1, s0
	s_mul_i32 s0, s29, s33
	s_mul_i32 s29, s18, s22
	s_mul_hi_u32 s30, s18, s17
	v_cvt_f32_u32_e32 v1, s23
	s_add_i32 s29, s30, s29
	s_mul_i32 s30, s19, s17
	s_add_i32 s29, s29, s30
	s_mul_i32 s30, s2, s21
	s_mul_hi_u32 s31, s2, s3
	s_mul_i32 s28, s28, s3
	s_add_i32 s30, s31, s30
	s_add_i32 s31, s30, s28
	s_lshl_b64 s[26:27], s[26:27], 1
	v_rcp_iflag_f32_e32 v1, v1
	s_mul_i32 s30, s2, s3
	s_waitcnt lgkmcnt(0)
	s_add_u32 s2, s8, s26
	s_addc_u32 s8, s9, s27
	s_lshl_b64 s[6:7], s[6:7], 1
	s_add_u32 s10, s10, s6
	s_addc_u32 s6, s11, s7
	s_lshl_b64 s[0:1], s[0:1], 1
	v_mul_f32_e32 v1, 0x4f7ffffe, v1
	s_add_u32 s11, s12, s0
	v_cvt_u32_f32_e32 v1, v1
	s_addc_u32 s7, s13, s1
	s_lshl_b64 s[0:1], s[30:31], 1
	s_add_u32 s12, s14, s0
	s_addc_u32 s0, s15, s1
	s_sub_i32 s1, 0, s23
	v_mul_lo_u32 v2, s1, v1
	s_load_dword s1, s[4:5], 0x5c
	s_mul_i32 s28, s18, s17
	s_mul_i32 s13, s17, s16
	v_mul_hi_u32 v2, v1, v2
	v_mov_b32_e32 v3, s8
	v_mov_b32_e32 v4, s6
	v_mov_b32_e32 v5, s7
	s_lshl_b64 s[6:7], s[28:29], 1
	s_lshl_b64 s[8:9], s[18:19], 1
	s_mul_i32 s14, s13, s33
	s_waitcnt lgkmcnt(0)
	s_and_b32 s15, s1, 0xffff
	v_add_u32_e32 v2, v1, v2
	s_sub_i32 s26, 0, s3
	s_sub_i32 s17, 0, s17
	s_mov_b64 s[4:5], 0
	v_mov_b32_e32 v6, s7
	v_mov_b32_e32 v7, s0
	;; [unrolled: 1-line block ×3, first 2 shown]
.LBB9_6:                                ; =>This Inner Loop Header: Depth=1
	v_sub_u32_e32 v1, 0, v0
	v_max_i32_e32 v11, v0, v1
	v_mul_hi_u32 v12, v11, v2
	v_ashrrev_i32_e32 v1, 31, v0
	v_lshlrev_b64 v[9:10], 1, v[0:1]
	v_xor_b32_e32 v14, s21, v1
	v_mul_lo_u32 v13, v12, s23
	v_add_u32_e32 v15, 1, v12
	v_sub_u32_e32 v13, v11, v13
	v_cmp_le_u32_e32 vcc, s23, v13
	v_add_co_u32_e64 v11, s[0:1], s2, v9
	v_cndmask_b32_e32 v15, v12, v15, vcc
	v_addc_co_u32_e64 v12, s[0:1], v3, v10, s[0:1]
	global_load_ushort v16, v[11:12], off
	v_subrev_u32_e32 v11, s23, v13
	v_cndmask_b32_e32 v11, v13, v11, vcc
	v_add_u32_e32 v12, 1, v15
	v_cmp_le_u32_e32 vcc, s23, v11
	v_cndmask_b32_e32 v11, v15, v12, vcc
	v_add_co_u32_e32 v9, vcc, s10, v9
	v_addc_co_u32_e32 v10, vcc, v4, v10, vcc
	global_load_ushort v17, v[9:10], off
	v_xor_b32_e32 v11, v11, v14
	v_sub_u32_e32 v11, v11, v14
	v_mad_u64_u32 v[9:10], s[0:1], s26, v11, v[0:1]
	v_mul_lo_u32 v1, v11, s3
	v_ashrrev_i32_e32 v10, 31, v9
	v_sub_u32_e32 v12, v10, v1
	v_add_u32_e32 v12, v0, v12
	v_xor_b32_e32 v12, v12, v10
	v_mul_hi_u32 v13, v12, s25
	v_xor_b32_e32 v10, s22, v10
	v_add_u32_e32 v0, s15, v0
	v_mul_lo_u32 v14, v13, s20
	v_sub_u32_e32 v12, v12, v14
	v_add_u32_e32 v14, 1, v13
	v_cmp_le_u32_e32 vcc, s20, v12
	v_cndmask_b32_e32 v13, v13, v14, vcc
	v_subrev_u32_e32 v14, s20, v12
	v_cndmask_b32_e32 v12, v12, v14, vcc
	v_add_u32_e32 v14, 1, v13
	v_cmp_le_u32_e32 vcc, s20, v12
	v_cndmask_b32_e32 v12, v13, v14, vcc
	v_xor_b32_e32 v12, v12, v10
	v_sub_u32_e32 v14, v12, v10
	v_mul_lo_u32 v10, s14, v11
	v_mul_lo_u32 v12, s13, v14
	v_ashrrev_i32_e32 v11, 31, v10
	v_lshlrev_b64 v[10:11], 1, v[10:11]
	v_ashrrev_i32_e32 v13, 31, v12
	v_add_co_u32_e32 v15, vcc, s11, v10
	v_mul_lo_u32 v10, v1, s16
	v_addc_co_u32_e32 v18, vcc, v5, v11, vcc
	v_lshlrev_b64 v[11:12], 1, v[12:13]
	v_add_co_u32_e32 v1, vcc, v15, v11
	v_ashrrev_i32_e32 v11, 31, v10
	v_lshlrev_b64 v[10:11], 1, v[10:11]
	v_addc_co_u32_e32 v18, vcc, v18, v12, vcc
	v_mad_u64_u32 v[14:15], s[0:1], s17, v14, v[9:10]
	v_add_co_u32_e32 v19, vcc, s12, v10
	v_mul_lo_u32 v12, v9, s16
	v_addc_co_u32_e32 v11, vcc, v7, v11, vcc
	v_ashrrev_i32_e32 v15, 31, v14
	v_lshlrev_b64 v[9:10], 1, v[14:15]
	v_add_co_u32_e32 v1, vcc, s6, v1
	v_addc_co_u32_e32 v14, vcc, v18, v6, vcc
	v_add_co_u32_e32 v9, vcc, v1, v9
	v_ashrrev_i32_e32 v13, 31, v12
	v_addc_co_u32_e32 v10, vcc, v14, v10, vcc
	s_waitcnt vmcnt(1)
	global_store_short v[9:10], v16, off
	v_lshlrev_b64 v[9:10], 1, v[12:13]
	v_add_co_u32_e32 v1, vcc, v19, v9
	v_addc_co_u32_e32 v10, vcc, v11, v10, vcc
	v_add_co_u32_e32 v9, vcc, s8, v1
	v_addc_co_u32_e32 v10, vcc, v10, v8, vcc
	v_cmp_le_i32_e32 vcc, s24, v0
	s_or_b64 s[4:5], vcc, s[4:5]
	s_waitcnt vmcnt(1)
	global_store_short v[9:10], v17, off
	s_andn2_b64 exec, exec, s[4:5]
	s_cbranch_execnz .LBB9_6
.LBB9_7:
	s_endpgm
.LBB9_8:
                                        ; implicit-def: $sgpr22_sgpr23
	s_branch .LBB9_3
	.section	.rodata,"a",@progbits
	.p2align	6, 0x0
	.amdhsa_kernel _ZN4vllm24reshape_and_cache_kernelIttLNS_18Fp8KVCacheDataTypeE0EEEvPKT_S4_PT0_S6_PKliiiiiiPKfSA_
		.amdhsa_group_segment_fixed_size 0
		.amdhsa_private_segment_fixed_size 0
		.amdhsa_kernarg_size 336
		.amdhsa_user_sgpr_count 6
		.amdhsa_user_sgpr_private_segment_buffer 1
		.amdhsa_user_sgpr_dispatch_ptr 0
		.amdhsa_user_sgpr_queue_ptr 0
		.amdhsa_user_sgpr_kernarg_segment_ptr 1
		.amdhsa_user_sgpr_dispatch_id 0
		.amdhsa_user_sgpr_flat_scratch_init 0
		.amdhsa_user_sgpr_private_segment_size 0
		.amdhsa_uses_dynamic_stack 0
		.amdhsa_system_sgpr_private_segment_wavefront_offset 0
		.amdhsa_system_sgpr_workgroup_id_x 1
		.amdhsa_system_sgpr_workgroup_id_y 0
		.amdhsa_system_sgpr_workgroup_id_z 0
		.amdhsa_system_sgpr_workgroup_info 0
		.amdhsa_system_vgpr_workitem_id 0
		.amdhsa_next_free_vgpr 20
		.amdhsa_next_free_sgpr 35
		.amdhsa_reserve_vcc 1
		.amdhsa_reserve_flat_scratch 0
		.amdhsa_float_round_mode_32 0
		.amdhsa_float_round_mode_16_64 0
		.amdhsa_float_denorm_mode_32 3
		.amdhsa_float_denorm_mode_16_64 3
		.amdhsa_dx10_clamp 1
		.amdhsa_ieee_mode 1
		.amdhsa_fp16_overflow 0
		.amdhsa_exception_fp_ieee_invalid_op 0
		.amdhsa_exception_fp_denorm_src 0
		.amdhsa_exception_fp_ieee_div_zero 0
		.amdhsa_exception_fp_ieee_overflow 0
		.amdhsa_exception_fp_ieee_underflow 0
		.amdhsa_exception_fp_ieee_inexact 0
		.amdhsa_exception_int_div_zero 0
	.end_amdhsa_kernel
	.section	.text._ZN4vllm24reshape_and_cache_kernelIttLNS_18Fp8KVCacheDataTypeE0EEEvPKT_S4_PT0_S6_PKliiiiiiPKfSA_,"axG",@progbits,_ZN4vllm24reshape_and_cache_kernelIttLNS_18Fp8KVCacheDataTypeE0EEEvPKT_S4_PT0_S6_PKliiiiiiPKfSA_,comdat
.Lfunc_end9:
	.size	_ZN4vllm24reshape_and_cache_kernelIttLNS_18Fp8KVCacheDataTypeE0EEEvPKT_S4_PT0_S6_PKliiiiiiPKfSA_, .Lfunc_end9-_ZN4vllm24reshape_and_cache_kernelIttLNS_18Fp8KVCacheDataTypeE0EEEvPKT_S4_PT0_S6_PKliiiiiiPKfSA_
                                        ; -- End function
	.set _ZN4vllm24reshape_and_cache_kernelIttLNS_18Fp8KVCacheDataTypeE0EEEvPKT_S4_PT0_S6_PKliiiiiiPKfSA_.num_vgpr, 20
	.set _ZN4vllm24reshape_and_cache_kernelIttLNS_18Fp8KVCacheDataTypeE0EEEvPKT_S4_PT0_S6_PKliiiiiiPKfSA_.num_agpr, 0
	.set _ZN4vllm24reshape_and_cache_kernelIttLNS_18Fp8KVCacheDataTypeE0EEEvPKT_S4_PT0_S6_PKliiiiiiPKfSA_.numbered_sgpr, 35
	.set _ZN4vllm24reshape_and_cache_kernelIttLNS_18Fp8KVCacheDataTypeE0EEEvPKT_S4_PT0_S6_PKliiiiiiPKfSA_.num_named_barrier, 0
	.set _ZN4vllm24reshape_and_cache_kernelIttLNS_18Fp8KVCacheDataTypeE0EEEvPKT_S4_PT0_S6_PKliiiiiiPKfSA_.private_seg_size, 0
	.set _ZN4vllm24reshape_and_cache_kernelIttLNS_18Fp8KVCacheDataTypeE0EEEvPKT_S4_PT0_S6_PKliiiiiiPKfSA_.uses_vcc, 1
	.set _ZN4vllm24reshape_and_cache_kernelIttLNS_18Fp8KVCacheDataTypeE0EEEvPKT_S4_PT0_S6_PKliiiiiiPKfSA_.uses_flat_scratch, 0
	.set _ZN4vllm24reshape_and_cache_kernelIttLNS_18Fp8KVCacheDataTypeE0EEEvPKT_S4_PT0_S6_PKliiiiiiPKfSA_.has_dyn_sized_stack, 0
	.set _ZN4vllm24reshape_and_cache_kernelIttLNS_18Fp8KVCacheDataTypeE0EEEvPKT_S4_PT0_S6_PKliiiiiiPKfSA_.has_recursion, 0
	.set _ZN4vllm24reshape_and_cache_kernelIttLNS_18Fp8KVCacheDataTypeE0EEEvPKT_S4_PT0_S6_PKliiiiiiPKfSA_.has_indirect_call, 0
	.section	.AMDGPU.csdata,"",@progbits
; Kernel info:
; codeLenInByte = 1664
; TotalNumSgprs: 39
; NumVgprs: 20
; ScratchSize: 0
; MemoryBound: 0
; FloatMode: 240
; IeeeMode: 1
; LDSByteSize: 0 bytes/workgroup (compile time only)
; SGPRBlocks: 4
; VGPRBlocks: 4
; NumSGPRsForWavesPerEU: 39
; NumVGPRsForWavesPerEU: 20
; Occupancy: 10
; WaveLimiterHint : 1
; COMPUTE_PGM_RSRC2:SCRATCH_EN: 0
; COMPUTE_PGM_RSRC2:USER_SGPR: 6
; COMPUTE_PGM_RSRC2:TRAP_HANDLER: 0
; COMPUTE_PGM_RSRC2:TGID_X_EN: 1
; COMPUTE_PGM_RSRC2:TGID_Y_EN: 0
; COMPUTE_PGM_RSRC2:TGID_Z_EN: 0
; COMPUTE_PGM_RSRC2:TIDIG_COMP_CNT: 0
	.section	.text._ZN4vllm24reshape_and_cache_kernelI14__hip_bfloat16S1_LNS_18Fp8KVCacheDataTypeE0EEEvPKT_S5_PT0_S7_PKliiiiiiPKfSB_,"axG",@progbits,_ZN4vllm24reshape_and_cache_kernelI14__hip_bfloat16S1_LNS_18Fp8KVCacheDataTypeE0EEEvPKT_S5_PT0_S7_PKliiiiiiPKfSB_,comdat
	.protected	_ZN4vllm24reshape_and_cache_kernelI14__hip_bfloat16S1_LNS_18Fp8KVCacheDataTypeE0EEEvPKT_S5_PT0_S7_PKliiiiiiPKfSB_ ; -- Begin function _ZN4vllm24reshape_and_cache_kernelI14__hip_bfloat16S1_LNS_18Fp8KVCacheDataTypeE0EEEvPKT_S5_PT0_S7_PKliiiiiiPKfSB_
	.globl	_ZN4vllm24reshape_and_cache_kernelI14__hip_bfloat16S1_LNS_18Fp8KVCacheDataTypeE0EEEvPKT_S5_PT0_S7_PKliiiiiiPKfSB_
	.p2align	8
	.type	_ZN4vllm24reshape_and_cache_kernelI14__hip_bfloat16S1_LNS_18Fp8KVCacheDataTypeE0EEEvPKT_S5_PT0_S7_PKliiiiiiPKfSB_,@function
_ZN4vllm24reshape_and_cache_kernelI14__hip_bfloat16S1_LNS_18Fp8KVCacheDataTypeE0EEEvPKT_S5_PT0_S7_PKliiiiiiPKfSB_: ; @_ZN4vllm24reshape_and_cache_kernelI14__hip_bfloat16S1_LNS_18Fp8KVCacheDataTypeE0EEEvPKT_S5_PT0_S7_PKliiiiiiPKfSB_
; %bb.0:
	s_load_dwordx2 s[0:1], s[4:5], 0x20
	s_mov_b32 s7, 0
	s_lshl_b64 s[2:3], s[6:7], 3
	s_waitcnt lgkmcnt(0)
	s_add_u32 s0, s0, s2
	s_addc_u32 s1, s1, s3
	s_load_dwordx2 s[18:19], s[0:1], 0x0
	s_waitcnt lgkmcnt(0)
	v_cmp_lt_i64_e64 s[0:1], s[18:19], 0
	s_and_b64 vcc, exec, s[0:1]
	s_cbranch_vccnz .LBB10_7
; %bb.1:
	s_load_dwordx2 s[16:17], s[4:5], 0x38
	s_load_dwordx4 s[0:3], s[4:5], 0x28
	s_waitcnt lgkmcnt(0)
	s_ashr_i32 s21, s16, 31
	s_mov_b32 s20, s16
	s_or_b64 s[8:9], s[18:19], s[20:21]
	s_mov_b32 s8, s7
	s_cmp_lg_u64 s[8:9], 0
	s_cbranch_scc0 .LBB10_8
; %bb.2:
	s_ashr_i32 s8, s21, 31
	s_add_u32 s10, s20, s8
	s_mov_b32 s9, s8
	s_addc_u32 s11, s21, s8
	s_xor_b64 s[12:13], s[10:11], s[8:9]
	v_cvt_f32_u32_e32 v1, s12
	v_cvt_f32_u32_e32 v2, s13
	s_sub_u32 s7, 0, s12
	s_subb_u32 s22, 0, s13
	v_madmk_f32 v1, v2, 0x4f800000, v1
	v_rcp_f32_e32 v1, v1
	v_mul_f32_e32 v1, 0x5f7ffffc, v1
	v_mul_f32_e32 v2, 0x2f800000, v1
	v_trunc_f32_e32 v2, v2
	v_madmk_f32 v1, v2, 0xcf800000, v1
	v_cvt_u32_f32_e32 v2, v2
	v_cvt_u32_f32_e32 v1, v1
	v_readfirstlane_b32 s23, v2
	v_readfirstlane_b32 s14, v1
	s_mul_i32 s15, s7, s23
	s_mul_hi_u32 s25, s7, s14
	s_mul_i32 s24, s22, s14
	s_add_i32 s15, s25, s15
	s_add_i32 s15, s15, s24
	s_mul_i32 s26, s7, s14
	s_mul_i32 s25, s14, s15
	s_mul_hi_u32 s27, s14, s26
	s_mul_hi_u32 s24, s14, s15
	s_add_u32 s25, s27, s25
	s_addc_u32 s24, 0, s24
	s_mul_hi_u32 s28, s23, s26
	s_mul_i32 s26, s23, s26
	s_add_u32 s25, s25, s26
	s_mul_hi_u32 s27, s23, s15
	s_addc_u32 s24, s24, s28
	s_addc_u32 s25, s27, 0
	s_mul_i32 s15, s23, s15
	s_add_u32 s15, s24, s15
	s_addc_u32 s24, 0, s25
	s_add_u32 s25, s14, s15
	s_cselect_b64 s[14:15], -1, 0
	s_cmp_lg_u64 s[14:15], 0
	s_addc_u32 s23, s23, s24
	s_mul_i32 s14, s7, s23
	s_mul_hi_u32 s15, s7, s25
	s_add_i32 s14, s15, s14
	s_mul_i32 s22, s22, s25
	s_add_i32 s14, s14, s22
	s_mul_i32 s7, s7, s25
	s_mul_hi_u32 s22, s23, s7
	s_mul_i32 s24, s23, s7
	s_mul_i32 s27, s25, s14
	s_mul_hi_u32 s7, s25, s7
	s_mul_hi_u32 s26, s25, s14
	s_add_u32 s7, s7, s27
	s_addc_u32 s26, 0, s26
	s_add_u32 s7, s7, s24
	s_mul_hi_u32 s15, s23, s14
	s_addc_u32 s7, s26, s22
	s_addc_u32 s15, s15, 0
	s_mul_i32 s14, s23, s14
	s_add_u32 s7, s7, s14
	s_addc_u32 s22, 0, s15
	s_add_u32 s7, s25, s7
	s_cselect_b64 s[14:15], -1, 0
	s_cmp_lg_u64 s[14:15], 0
	s_addc_u32 s24, s23, s22
	s_ashr_i32 s14, s19, 31
	s_add_u32 s22, s18, s14
	s_mov_b32 s15, s14
	s_addc_u32 s23, s19, s14
	s_xor_b64 s[22:23], s[22:23], s[14:15]
	s_mul_i32 s26, s22, s24
	s_mul_hi_u32 s27, s22, s7
	s_mul_hi_u32 s25, s22, s24
	s_add_u32 s26, s27, s26
	s_addc_u32 s25, 0, s25
	s_mul_hi_u32 s28, s23, s7
	s_mul_i32 s7, s23, s7
	s_add_u32 s7, s26, s7
	s_mul_hi_u32 s27, s23, s24
	s_addc_u32 s7, s25, s28
	s_addc_u32 s25, s27, 0
	s_mul_i32 s24, s23, s24
	s_add_u32 s7, s7, s24
	s_addc_u32 s28, 0, s25
	s_mul_i32 s24, s12, s28
	s_mul_hi_u32 s25, s12, s7
	s_add_i32 s24, s25, s24
	s_mul_i32 s25, s13, s7
	s_add_i32 s29, s24, s25
	s_sub_i32 s26, s23, s29
	s_mul_i32 s24, s12, s7
	s_sub_u32 s22, s22, s24
	s_cselect_b64 s[24:25], -1, 0
	s_cmp_lg_u64 s[24:25], 0
	s_subb_u32 s30, s26, s13
	s_sub_u32 s31, s22, s12
	s_cselect_b64 s[26:27], -1, 0
	s_cmp_lg_u64 s[26:27], 0
	s_subb_u32 s26, s30, 0
	s_cmp_ge_u32 s26, s13
	s_cselect_b32 s27, -1, 0
	s_cmp_ge_u32 s31, s12
	s_cselect_b32 s30, -1, 0
	s_cmp_eq_u32 s26, s13
	s_cselect_b32 s26, s30, s27
	s_add_u32 s27, s7, 1
	s_addc_u32 s30, s28, 0
	s_add_u32 s31, s7, 2
	s_addc_u32 s33, s28, 0
	s_cmp_lg_u32 s26, 0
	s_cselect_b32 s26, s31, s27
	s_cselect_b32 s27, s33, s30
	s_cmp_lg_u64 s[24:25], 0
	s_subb_u32 s23, s23, s29
	s_cmp_ge_u32 s23, s13
	s_cselect_b32 s24, -1, 0
	s_cmp_ge_u32 s22, s12
	s_cselect_b32 s12, -1, 0
	s_cmp_eq_u32 s23, s13
	s_cselect_b32 s12, s12, s24
	s_cmp_lg_u32 s12, 0
	s_cselect_b32 s13, s27, s28
	s_cselect_b32 s12, s26, s7
	s_xor_b64 s[8:9], s[14:15], s[8:9]
	s_xor_b64 s[12:13], s[12:13], s[8:9]
	s_sub_u32 s22, s12, s8
	s_subb_u32 s23, s13, s9
	s_cbranch_execnz .LBB10_4
.LBB10_3:
	v_cvt_f32_u32_e32 v1, s20
	s_sub_i32 s7, 0, s20
	s_mov_b32 s23, 0
	v_rcp_iflag_f32_e32 v1, v1
	v_mul_f32_e32 v1, 0x4f7ffffe, v1
	v_cvt_u32_f32_e32 v1, v1
	v_readfirstlane_b32 s8, v1
	s_mul_i32 s7, s7, s8
	s_mul_hi_u32 s7, s8, s7
	s_add_i32 s8, s8, s7
	s_mul_hi_u32 s7, s18, s8
	s_mul_i32 s9, s7, s20
	s_sub_i32 s9, s18, s9
	s_add_i32 s8, s7, 1
	s_sub_i32 s10, s9, s20
	s_cmp_ge_u32 s9, s20
	s_cselect_b32 s7, s8, s7
	s_cselect_b32 s9, s10, s9
	s_add_i32 s8, s7, 1
	s_cmp_ge_u32 s9, s20
	s_cselect_b32 s22, s8, s7
.LBB10_4:
	s_mul_i32 s24, s3, s2
	v_cmp_gt_i32_e32 vcc, s24, v0
	s_and_saveexec_b64 s[8:9], vcc
	s_cbranch_execz .LBB10_7
; %bb.5:
	s_mul_i32 s7, s22, s21
	s_mul_hi_u32 s21, s22, s20
	s_add_i32 s7, s21, s7
	s_mul_i32 s21, s23, s20
	s_add_i32 s28, s7, s21
	s_mul_i32 s29, s22, s20
	s_sub_u32 s18, s18, s29
	s_subb_u32 s19, s19, s28
	s_ashr_i32 s7, s0, 31
	s_mul_hi_u32 s20, s0, s6
	s_mul_i32 s7, s7, s6
	s_add_i32 s27, s20, s7
	s_abs_i32 s20, s17
	v_cvt_f32_u32_e32 v1, s20
	s_sub_i32 s25, 0, s20
	s_abs_i32 s23, s3
	s_mul_i32 s26, s0, s6
	v_rcp_iflag_f32_e32 v1, v1
	s_ashr_i32 s0, s1, 31
	s_mul_hi_u32 s7, s1, s6
	s_mul_i32 s0, s0, s6
	v_mul_f32_e32 v1, 0x4f7ffffe, v1
	v_cvt_u32_f32_e32 v1, v1
	s_ashr_i32 s21, s3, 31
	s_ashr_i32 s22, s17, 31
	s_add_i32 s7, s7, s0
	v_readfirstlane_b32 s30, v1
	s_mul_i32 s25, s25, s30
	s_mul_hi_u32 s25, s30, s25
	s_add_i32 s25, s30, s25
	s_mul_hi_u32 s30, s23, s25
	s_mul_i32 s31, s30, s20
	s_sub_i32 s31, s23, s31
	s_mul_i32 s6, s1, s6
	s_ashr_i32 s0, s2, 31
	s_xor_b32 s1, s21, s22
	s_add_i32 s33, s30, 1
	s_sub_i32 s34, s31, s20
	s_cmp_ge_u32 s31, s20
	s_cselect_b32 s30, s33, s30
	s_cselect_b32 s31, s34, s31
	s_add_i32 s33, s30, 1
	s_cmp_ge_u32 s31, s20
	s_cselect_b32 s30, s33, s30
	s_xor_b32 s30, s30, s1
	s_sub_i32 s33, s30, s1
	s_mul_i32 s0, s29, s0
	s_mul_hi_u32 s30, s29, s2
	s_mul_i32 s28, s28, s2
	s_add_i32 s0, s30, s0
	s_mul_i32 s2, s29, s2
	s_add_i32 s28, s0, s28
	s_mul_i32 s29, s2, s22
	s_mul_hi_u32 s30, s2, s17
	s_mul_i32 s0, s28, s17
	s_add_i32 s29, s30, s29
	s_ashr_i32 s1, s33, 31
	s_add_i32 s0, s29, s0
	s_mul_i32 s29, s2, s17
	s_mul_i32 s1, s29, s1
	s_mul_hi_u32 s30, s29, s33
	s_add_i32 s1, s30, s1
	s_mul_i32 s0, s0, s33
	s_load_dwordx8 s[8:15], s[4:5], 0x0
	s_add_i32 s1, s1, s0
	s_mul_i32 s0, s29, s33
	s_mul_i32 s29, s18, s22
	s_mul_hi_u32 s30, s18, s17
	v_cvt_f32_u32_e32 v1, s23
	s_add_i32 s29, s30, s29
	s_mul_i32 s30, s19, s17
	s_add_i32 s29, s29, s30
	s_mul_i32 s30, s2, s21
	s_mul_hi_u32 s31, s2, s3
	s_mul_i32 s28, s28, s3
	s_add_i32 s30, s31, s30
	s_add_i32 s31, s30, s28
	s_lshl_b64 s[26:27], s[26:27], 1
	v_rcp_iflag_f32_e32 v1, v1
	s_mul_i32 s30, s2, s3
	s_waitcnt lgkmcnt(0)
	s_add_u32 s2, s8, s26
	s_addc_u32 s8, s9, s27
	s_lshl_b64 s[6:7], s[6:7], 1
	s_add_u32 s10, s10, s6
	s_addc_u32 s6, s11, s7
	s_lshl_b64 s[0:1], s[0:1], 1
	v_mul_f32_e32 v1, 0x4f7ffffe, v1
	s_add_u32 s11, s12, s0
	v_cvt_u32_f32_e32 v1, v1
	s_addc_u32 s7, s13, s1
	s_lshl_b64 s[0:1], s[30:31], 1
	s_add_u32 s12, s14, s0
	s_addc_u32 s0, s15, s1
	s_sub_i32 s1, 0, s23
	v_mul_lo_u32 v2, s1, v1
	s_load_dword s1, s[4:5], 0x5c
	s_mul_i32 s28, s18, s17
	s_mul_i32 s13, s17, s16
	v_mul_hi_u32 v2, v1, v2
	v_mov_b32_e32 v3, s8
	v_mov_b32_e32 v4, s6
	;; [unrolled: 1-line block ×3, first 2 shown]
	s_lshl_b64 s[6:7], s[28:29], 1
	s_lshl_b64 s[8:9], s[18:19], 1
	s_mul_i32 s14, s13, s33
	s_waitcnt lgkmcnt(0)
	s_and_b32 s15, s1, 0xffff
	v_add_u32_e32 v2, v1, v2
	s_sub_i32 s26, 0, s3
	s_sub_i32 s17, 0, s17
	s_mov_b64 s[4:5], 0
	v_mov_b32_e32 v6, s7
	v_mov_b32_e32 v7, s0
	;; [unrolled: 1-line block ×3, first 2 shown]
.LBB10_6:                               ; =>This Inner Loop Header: Depth=1
	v_sub_u32_e32 v1, 0, v0
	v_max_i32_e32 v11, v0, v1
	v_mul_hi_u32 v12, v11, v2
	v_ashrrev_i32_e32 v1, 31, v0
	v_lshlrev_b64 v[9:10], 1, v[0:1]
	v_xor_b32_e32 v14, s21, v1
	v_mul_lo_u32 v13, v12, s23
	v_add_u32_e32 v15, 1, v12
	v_sub_u32_e32 v13, v11, v13
	v_cmp_le_u32_e32 vcc, s23, v13
	v_add_co_u32_e64 v11, s[0:1], s2, v9
	v_cndmask_b32_e32 v15, v12, v15, vcc
	v_addc_co_u32_e64 v12, s[0:1], v3, v10, s[0:1]
	global_load_ushort v16, v[11:12], off
	v_subrev_u32_e32 v11, s23, v13
	v_cndmask_b32_e32 v11, v13, v11, vcc
	v_add_u32_e32 v12, 1, v15
	v_cmp_le_u32_e32 vcc, s23, v11
	v_cndmask_b32_e32 v11, v15, v12, vcc
	v_add_co_u32_e32 v9, vcc, s10, v9
	v_addc_co_u32_e32 v10, vcc, v4, v10, vcc
	global_load_ushort v17, v[9:10], off
	v_xor_b32_e32 v11, v11, v14
	v_sub_u32_e32 v11, v11, v14
	v_mad_u64_u32 v[9:10], s[0:1], s26, v11, v[0:1]
	v_mul_lo_u32 v1, v11, s3
	v_ashrrev_i32_e32 v10, 31, v9
	v_sub_u32_e32 v12, v10, v1
	v_add_u32_e32 v12, v0, v12
	v_xor_b32_e32 v12, v12, v10
	v_mul_hi_u32 v13, v12, s25
	v_xor_b32_e32 v10, s22, v10
	v_add_u32_e32 v0, s15, v0
	v_mul_lo_u32 v14, v13, s20
	v_sub_u32_e32 v12, v12, v14
	v_add_u32_e32 v14, 1, v13
	v_cmp_le_u32_e32 vcc, s20, v12
	v_cndmask_b32_e32 v13, v13, v14, vcc
	v_subrev_u32_e32 v14, s20, v12
	v_cndmask_b32_e32 v12, v12, v14, vcc
	v_add_u32_e32 v14, 1, v13
	v_cmp_le_u32_e32 vcc, s20, v12
	v_cndmask_b32_e32 v12, v13, v14, vcc
	v_xor_b32_e32 v12, v12, v10
	v_sub_u32_e32 v14, v12, v10
	v_mul_lo_u32 v10, s14, v11
	v_mul_lo_u32 v12, s13, v14
	v_ashrrev_i32_e32 v11, 31, v10
	v_lshlrev_b64 v[10:11], 1, v[10:11]
	v_ashrrev_i32_e32 v13, 31, v12
	v_add_co_u32_e32 v15, vcc, s11, v10
	v_mul_lo_u32 v10, v1, s16
	v_addc_co_u32_e32 v18, vcc, v5, v11, vcc
	v_lshlrev_b64 v[11:12], 1, v[12:13]
	v_add_co_u32_e32 v1, vcc, v15, v11
	v_ashrrev_i32_e32 v11, 31, v10
	v_lshlrev_b64 v[10:11], 1, v[10:11]
	v_addc_co_u32_e32 v18, vcc, v18, v12, vcc
	v_mad_u64_u32 v[14:15], s[0:1], s17, v14, v[9:10]
	v_add_co_u32_e32 v19, vcc, s12, v10
	v_mul_lo_u32 v12, v9, s16
	v_addc_co_u32_e32 v11, vcc, v7, v11, vcc
	v_ashrrev_i32_e32 v15, 31, v14
	v_lshlrev_b64 v[9:10], 1, v[14:15]
	v_add_co_u32_e32 v1, vcc, s6, v1
	v_addc_co_u32_e32 v14, vcc, v18, v6, vcc
	v_add_co_u32_e32 v9, vcc, v1, v9
	v_ashrrev_i32_e32 v13, 31, v12
	v_addc_co_u32_e32 v10, vcc, v14, v10, vcc
	s_waitcnt vmcnt(1)
	global_store_short v[9:10], v16, off
	v_lshlrev_b64 v[9:10], 1, v[12:13]
	v_add_co_u32_e32 v1, vcc, v19, v9
	v_addc_co_u32_e32 v10, vcc, v11, v10, vcc
	v_add_co_u32_e32 v9, vcc, s8, v1
	v_addc_co_u32_e32 v10, vcc, v10, v8, vcc
	v_cmp_le_i32_e32 vcc, s24, v0
	s_or_b64 s[4:5], vcc, s[4:5]
	s_waitcnt vmcnt(1)
	global_store_short v[9:10], v17, off
	s_andn2_b64 exec, exec, s[4:5]
	s_cbranch_execnz .LBB10_6
.LBB10_7:
	s_endpgm
.LBB10_8:
                                        ; implicit-def: $sgpr22_sgpr23
	s_branch .LBB10_3
	.section	.rodata,"a",@progbits
	.p2align	6, 0x0
	.amdhsa_kernel _ZN4vllm24reshape_and_cache_kernelI14__hip_bfloat16S1_LNS_18Fp8KVCacheDataTypeE0EEEvPKT_S5_PT0_S7_PKliiiiiiPKfSB_
		.amdhsa_group_segment_fixed_size 0
		.amdhsa_private_segment_fixed_size 0
		.amdhsa_kernarg_size 336
		.amdhsa_user_sgpr_count 6
		.amdhsa_user_sgpr_private_segment_buffer 1
		.amdhsa_user_sgpr_dispatch_ptr 0
		.amdhsa_user_sgpr_queue_ptr 0
		.amdhsa_user_sgpr_kernarg_segment_ptr 1
		.amdhsa_user_sgpr_dispatch_id 0
		.amdhsa_user_sgpr_flat_scratch_init 0
		.amdhsa_user_sgpr_private_segment_size 0
		.amdhsa_uses_dynamic_stack 0
		.amdhsa_system_sgpr_private_segment_wavefront_offset 0
		.amdhsa_system_sgpr_workgroup_id_x 1
		.amdhsa_system_sgpr_workgroup_id_y 0
		.amdhsa_system_sgpr_workgroup_id_z 0
		.amdhsa_system_sgpr_workgroup_info 0
		.amdhsa_system_vgpr_workitem_id 0
		.amdhsa_next_free_vgpr 20
		.amdhsa_next_free_sgpr 35
		.amdhsa_reserve_vcc 1
		.amdhsa_reserve_flat_scratch 0
		.amdhsa_float_round_mode_32 0
		.amdhsa_float_round_mode_16_64 0
		.amdhsa_float_denorm_mode_32 3
		.amdhsa_float_denorm_mode_16_64 3
		.amdhsa_dx10_clamp 1
		.amdhsa_ieee_mode 1
		.amdhsa_fp16_overflow 0
		.amdhsa_exception_fp_ieee_invalid_op 0
		.amdhsa_exception_fp_denorm_src 0
		.amdhsa_exception_fp_ieee_div_zero 0
		.amdhsa_exception_fp_ieee_overflow 0
		.amdhsa_exception_fp_ieee_underflow 0
		.amdhsa_exception_fp_ieee_inexact 0
		.amdhsa_exception_int_div_zero 0
	.end_amdhsa_kernel
	.section	.text._ZN4vllm24reshape_and_cache_kernelI14__hip_bfloat16S1_LNS_18Fp8KVCacheDataTypeE0EEEvPKT_S5_PT0_S7_PKliiiiiiPKfSB_,"axG",@progbits,_ZN4vllm24reshape_and_cache_kernelI14__hip_bfloat16S1_LNS_18Fp8KVCacheDataTypeE0EEEvPKT_S5_PT0_S7_PKliiiiiiPKfSB_,comdat
.Lfunc_end10:
	.size	_ZN4vllm24reshape_and_cache_kernelI14__hip_bfloat16S1_LNS_18Fp8KVCacheDataTypeE0EEEvPKT_S5_PT0_S7_PKliiiiiiPKfSB_, .Lfunc_end10-_ZN4vllm24reshape_and_cache_kernelI14__hip_bfloat16S1_LNS_18Fp8KVCacheDataTypeE0EEEvPKT_S5_PT0_S7_PKliiiiiiPKfSB_
                                        ; -- End function
	.set _ZN4vllm24reshape_and_cache_kernelI14__hip_bfloat16S1_LNS_18Fp8KVCacheDataTypeE0EEEvPKT_S5_PT0_S7_PKliiiiiiPKfSB_.num_vgpr, 20
	.set _ZN4vllm24reshape_and_cache_kernelI14__hip_bfloat16S1_LNS_18Fp8KVCacheDataTypeE0EEEvPKT_S5_PT0_S7_PKliiiiiiPKfSB_.num_agpr, 0
	.set _ZN4vllm24reshape_and_cache_kernelI14__hip_bfloat16S1_LNS_18Fp8KVCacheDataTypeE0EEEvPKT_S5_PT0_S7_PKliiiiiiPKfSB_.numbered_sgpr, 35
	.set _ZN4vllm24reshape_and_cache_kernelI14__hip_bfloat16S1_LNS_18Fp8KVCacheDataTypeE0EEEvPKT_S5_PT0_S7_PKliiiiiiPKfSB_.num_named_barrier, 0
	.set _ZN4vllm24reshape_and_cache_kernelI14__hip_bfloat16S1_LNS_18Fp8KVCacheDataTypeE0EEEvPKT_S5_PT0_S7_PKliiiiiiPKfSB_.private_seg_size, 0
	.set _ZN4vllm24reshape_and_cache_kernelI14__hip_bfloat16S1_LNS_18Fp8KVCacheDataTypeE0EEEvPKT_S5_PT0_S7_PKliiiiiiPKfSB_.uses_vcc, 1
	.set _ZN4vllm24reshape_and_cache_kernelI14__hip_bfloat16S1_LNS_18Fp8KVCacheDataTypeE0EEEvPKT_S5_PT0_S7_PKliiiiiiPKfSB_.uses_flat_scratch, 0
	.set _ZN4vllm24reshape_and_cache_kernelI14__hip_bfloat16S1_LNS_18Fp8KVCacheDataTypeE0EEEvPKT_S5_PT0_S7_PKliiiiiiPKfSB_.has_dyn_sized_stack, 0
	.set _ZN4vllm24reshape_and_cache_kernelI14__hip_bfloat16S1_LNS_18Fp8KVCacheDataTypeE0EEEvPKT_S5_PT0_S7_PKliiiiiiPKfSB_.has_recursion, 0
	.set _ZN4vllm24reshape_and_cache_kernelI14__hip_bfloat16S1_LNS_18Fp8KVCacheDataTypeE0EEEvPKT_S5_PT0_S7_PKliiiiiiPKfSB_.has_indirect_call, 0
	.section	.AMDGPU.csdata,"",@progbits
; Kernel info:
; codeLenInByte = 1664
; TotalNumSgprs: 39
; NumVgprs: 20
; ScratchSize: 0
; MemoryBound: 0
; FloatMode: 240
; IeeeMode: 1
; LDSByteSize: 0 bytes/workgroup (compile time only)
; SGPRBlocks: 4
; VGPRBlocks: 4
; NumSGPRsForWavesPerEU: 39
; NumVGPRsForWavesPerEU: 20
; Occupancy: 10
; WaveLimiterHint : 1
; COMPUTE_PGM_RSRC2:SCRATCH_EN: 0
; COMPUTE_PGM_RSRC2:USER_SGPR: 6
; COMPUTE_PGM_RSRC2:TRAP_HANDLER: 0
; COMPUTE_PGM_RSRC2:TGID_X_EN: 1
; COMPUTE_PGM_RSRC2:TGID_Y_EN: 0
; COMPUTE_PGM_RSRC2:TGID_Z_EN: 0
; COMPUTE_PGM_RSRC2:TIDIG_COMP_CNT: 0
	.section	.text._ZN4vllm24reshape_and_cache_kernelIfhLNS_18Fp8KVCacheDataTypeE1EEEvPKT_S4_PT0_S6_PKliiiiiiPKfSA_,"axG",@progbits,_ZN4vllm24reshape_and_cache_kernelIfhLNS_18Fp8KVCacheDataTypeE1EEEvPKT_S4_PT0_S6_PKliiiiiiPKfSA_,comdat
	.protected	_ZN4vllm24reshape_and_cache_kernelIfhLNS_18Fp8KVCacheDataTypeE1EEEvPKT_S4_PT0_S6_PKliiiiiiPKfSA_ ; -- Begin function _ZN4vllm24reshape_and_cache_kernelIfhLNS_18Fp8KVCacheDataTypeE1EEEvPKT_S4_PT0_S6_PKliiiiiiPKfSA_
	.globl	_ZN4vllm24reshape_and_cache_kernelIfhLNS_18Fp8KVCacheDataTypeE1EEEvPKT_S4_PT0_S6_PKliiiiiiPKfSA_
	.p2align	8
	.type	_ZN4vllm24reshape_and_cache_kernelIfhLNS_18Fp8KVCacheDataTypeE1EEEvPKT_S4_PT0_S6_PKliiiiiiPKfSA_,@function
_ZN4vllm24reshape_and_cache_kernelIfhLNS_18Fp8KVCacheDataTypeE1EEEvPKT_S4_PT0_S6_PKliiiiiiPKfSA_: ; @_ZN4vllm24reshape_and_cache_kernelIfhLNS_18Fp8KVCacheDataTypeE1EEEvPKT_S4_PT0_S6_PKliiiiiiPKfSA_
; %bb.0:
	s_load_dwordx2 s[0:1], s[4:5], 0x20
	s_mov_b32 s7, 0
	s_lshl_b64 s[2:3], s[6:7], 3
	s_waitcnt lgkmcnt(0)
	s_add_u32 s0, s0, s2
	s_addc_u32 s1, s1, s3
	s_load_dwordx2 s[16:17], s[0:1], 0x0
	s_waitcnt lgkmcnt(0)
	v_cmp_lt_i64_e64 s[0:1], s[16:17], 0
	s_and_b64 vcc, exec, s[0:1]
	s_cbranch_vccnz .LBB11_47
; %bb.1:
	s_load_dwordx2 s[20:21], s[4:5], 0x38
	s_load_dwordx4 s[0:3], s[4:5], 0x28
	s_waitcnt lgkmcnt(0)
	s_ashr_i32 s19, s20, 31
	s_mov_b32 s18, s20
	s_or_b64 s[8:9], s[16:17], s[18:19]
	s_mov_b32 s8, s7
	s_cmp_lg_u64 s[8:9], 0
	s_cbranch_scc0 .LBB11_48
; %bb.2:
	s_ashr_i32 s8, s19, 31
	s_add_u32 s10, s18, s8
	s_mov_b32 s9, s8
	s_addc_u32 s11, s19, s8
	s_xor_b64 s[12:13], s[10:11], s[8:9]
	v_cvt_f32_u32_e32 v1, s12
	v_cvt_f32_u32_e32 v2, s13
	s_sub_u32 s7, 0, s12
	s_subb_u32 s22, 0, s13
	v_madmk_f32 v1, v2, 0x4f800000, v1
	v_rcp_f32_e32 v1, v1
	v_mul_f32_e32 v1, 0x5f7ffffc, v1
	v_mul_f32_e32 v2, 0x2f800000, v1
	v_trunc_f32_e32 v2, v2
	v_madmk_f32 v1, v2, 0xcf800000, v1
	v_cvt_u32_f32_e32 v2, v2
	v_cvt_u32_f32_e32 v1, v1
	v_readfirstlane_b32 s23, v2
	v_readfirstlane_b32 s14, v1
	s_mul_i32 s15, s7, s23
	s_mul_hi_u32 s25, s7, s14
	s_mul_i32 s24, s22, s14
	s_add_i32 s15, s25, s15
	s_add_i32 s15, s15, s24
	s_mul_i32 s26, s7, s14
	s_mul_i32 s25, s14, s15
	s_mul_hi_u32 s27, s14, s26
	s_mul_hi_u32 s24, s14, s15
	s_add_u32 s25, s27, s25
	s_addc_u32 s24, 0, s24
	s_mul_hi_u32 s28, s23, s26
	s_mul_i32 s26, s23, s26
	s_add_u32 s25, s25, s26
	s_mul_hi_u32 s27, s23, s15
	s_addc_u32 s24, s24, s28
	s_addc_u32 s25, s27, 0
	s_mul_i32 s15, s23, s15
	s_add_u32 s15, s24, s15
	s_addc_u32 s24, 0, s25
	s_add_u32 s25, s14, s15
	s_cselect_b64 s[14:15], -1, 0
	s_cmp_lg_u64 s[14:15], 0
	s_addc_u32 s23, s23, s24
	s_mul_i32 s14, s7, s23
	s_mul_hi_u32 s15, s7, s25
	s_add_i32 s14, s15, s14
	s_mul_i32 s22, s22, s25
	s_add_i32 s14, s14, s22
	s_mul_i32 s7, s7, s25
	s_mul_hi_u32 s22, s23, s7
	s_mul_i32 s24, s23, s7
	s_mul_i32 s27, s25, s14
	s_mul_hi_u32 s7, s25, s7
	s_mul_hi_u32 s26, s25, s14
	s_add_u32 s7, s7, s27
	s_addc_u32 s26, 0, s26
	s_add_u32 s7, s7, s24
	s_mul_hi_u32 s15, s23, s14
	s_addc_u32 s7, s26, s22
	s_addc_u32 s15, s15, 0
	s_mul_i32 s14, s23, s14
	s_add_u32 s7, s7, s14
	s_addc_u32 s22, 0, s15
	s_add_u32 s7, s25, s7
	s_cselect_b64 s[14:15], -1, 0
	s_cmp_lg_u64 s[14:15], 0
	s_addc_u32 s24, s23, s22
	s_ashr_i32 s14, s17, 31
	s_add_u32 s22, s16, s14
	s_mov_b32 s15, s14
	s_addc_u32 s23, s17, s14
	s_xor_b64 s[22:23], s[22:23], s[14:15]
	s_mul_i32 s26, s22, s24
	s_mul_hi_u32 s27, s22, s7
	s_mul_hi_u32 s25, s22, s24
	s_add_u32 s26, s27, s26
	s_addc_u32 s25, 0, s25
	s_mul_hi_u32 s28, s23, s7
	s_mul_i32 s7, s23, s7
	s_add_u32 s7, s26, s7
	s_mul_hi_u32 s27, s23, s24
	s_addc_u32 s7, s25, s28
	s_addc_u32 s25, s27, 0
	s_mul_i32 s24, s23, s24
	s_add_u32 s7, s7, s24
	s_addc_u32 s28, 0, s25
	s_mul_i32 s24, s12, s28
	s_mul_hi_u32 s25, s12, s7
	s_add_i32 s24, s25, s24
	s_mul_i32 s25, s13, s7
	s_add_i32 s29, s24, s25
	s_sub_i32 s26, s23, s29
	s_mul_i32 s24, s12, s7
	s_sub_u32 s22, s22, s24
	s_cselect_b64 s[24:25], -1, 0
	s_cmp_lg_u64 s[24:25], 0
	s_subb_u32 s30, s26, s13
	s_sub_u32 s31, s22, s12
	s_cselect_b64 s[26:27], -1, 0
	s_cmp_lg_u64 s[26:27], 0
	s_subb_u32 s26, s30, 0
	s_cmp_ge_u32 s26, s13
	s_cselect_b32 s27, -1, 0
	s_cmp_ge_u32 s31, s12
	s_cselect_b32 s30, -1, 0
	s_cmp_eq_u32 s26, s13
	s_cselect_b32 s26, s30, s27
	s_add_u32 s27, s7, 1
	s_addc_u32 s30, s28, 0
	s_add_u32 s31, s7, 2
	s_addc_u32 s33, s28, 0
	s_cmp_lg_u32 s26, 0
	s_cselect_b32 s26, s31, s27
	s_cselect_b32 s27, s33, s30
	s_cmp_lg_u64 s[24:25], 0
	s_subb_u32 s23, s23, s29
	s_cmp_ge_u32 s23, s13
	s_cselect_b32 s24, -1, 0
	s_cmp_ge_u32 s22, s12
	s_cselect_b32 s12, -1, 0
	s_cmp_eq_u32 s23, s13
	s_cselect_b32 s12, s12, s24
	s_cmp_lg_u32 s12, 0
	s_cselect_b32 s13, s27, s28
	s_cselect_b32 s12, s26, s7
	s_xor_b64 s[8:9], s[14:15], s[8:9]
	s_xor_b64 s[12:13], s[12:13], s[8:9]
	s_sub_u32 s22, s12, s8
	s_subb_u32 s23, s13, s9
	s_cbranch_execnz .LBB11_4
.LBB11_3:
	v_cvt_f32_u32_e32 v1, s18
	s_sub_i32 s7, 0, s18
	s_mov_b32 s23, 0
	v_rcp_iflag_f32_e32 v1, v1
	v_mul_f32_e32 v1, 0x4f7ffffe, v1
	v_cvt_u32_f32_e32 v1, v1
	v_readfirstlane_b32 s8, v1
	s_mul_i32 s7, s7, s8
	s_mul_hi_u32 s7, s8, s7
	s_add_i32 s8, s8, s7
	s_mul_hi_u32 s7, s16, s8
	s_mul_i32 s9, s7, s18
	s_sub_i32 s9, s16, s9
	s_add_i32 s8, s7, 1
	s_sub_i32 s10, s9, s18
	s_cmp_ge_u32 s9, s18
	s_cselect_b32 s7, s8, s7
	s_cselect_b32 s9, s10, s9
	s_add_i32 s8, s7, 1
	s_cmp_ge_u32 s9, s18
	s_cselect_b32 s22, s8, s7
.LBB11_4:
	s_mul_i32 s24, s3, s2
	v_cmp_gt_i32_e32 vcc, s24, v0
	s_and_saveexec_b64 s[8:9], vcc
	s_cbranch_execz .LBB11_47
; %bb.5:
	s_mul_i32 s7, s22, s19
	s_mul_hi_u32 s19, s22, s18
	s_add_i32 s7, s19, s7
	s_mul_i32 s19, s23, s18
	s_add_i32 s30, s7, s19
	s_mul_i32 s31, s22, s18
	s_sub_u32 s22, s16, s31
	s_subb_u32 s23, s17, s30
	s_ashr_i32 s7, s0, 31
	s_mul_hi_u32 s25, s0, s6
	s_mul_i32 s7, s7, s6
	s_add_i32 s35, s25, s7
	s_abs_i32 s25, s21
	v_cvt_f32_u32_e32 v1, s25
	s_sub_i32 s29, 0, s25
	s_abs_i32 s28, s3
	s_mul_i32 s34, s0, s6
	v_rcp_iflag_f32_e32 v1, v1
	s_ashr_i32 s0, s1, 31
	s_mul_hi_u32 s7, s1, s6
	s_mul_i32 s0, s0, s6
	v_mul_f32_e32 v1, 0x4f7ffffe, v1
	v_cvt_u32_f32_e32 v1, v1
	s_ashr_i32 s26, s3, 31
	s_ashr_i32 s27, s21, 31
	s_add_i32 s7, s7, s0
	v_readfirstlane_b32 s33, v1
	s_mul_i32 s29, s29, s33
	s_mul_hi_u32 s29, s33, s29
	s_add_i32 s29, s33, s29
	s_mul_hi_u32 s33, s28, s29
	s_mul_i32 s36, s33, s25
	s_sub_i32 s36, s28, s36
	s_mul_i32 s6, s1, s6
	s_ashr_i32 s0, s2, 31
	s_xor_b32 s1, s26, s27
	s_add_i32 s37, s33, 1
	s_sub_i32 s38, s36, s25
	s_cmp_ge_u32 s36, s25
	s_cselect_b32 s33, s37, s33
	s_cselect_b32 s36, s38, s36
	s_add_i32 s37, s33, 1
	s_cmp_ge_u32 s36, s25
	s_cselect_b32 s33, s37, s33
	s_xor_b32 s33, s33, s1
	s_sub_i32 s38, s33, s1
	s_mul_i32 s0, s31, s0
	s_mul_hi_u32 s33, s31, s2
	s_mul_i32 s30, s30, s2
	s_add_i32 s0, s33, s0
	s_mul_i32 s31, s31, s2
	s_add_i32 s0, s0, s30
	s_mul_i32 s30, s31, s27
	s_mul_hi_u32 s33, s31, s21
	s_mul_i32 s2, s0, s21
	s_add_i32 s30, s33, s30
	s_ashr_i32 s1, s38, 31
	s_add_i32 s2, s30, s2
	s_mul_i32 s30, s31, s21
	s_mul_i32 s1, s30, s1
	s_mul_hi_u32 s33, s30, s38
	s_add_i32 s1, s33, s1
	s_mul_i32 s2, s2, s38
	s_load_dwordx8 s[8:15], s[4:5], 0x0
	s_add_i32 s36, s1, s2
	s_mul_i32 s37, s30, s38
	s_mul_i32 s1, s22, s27
	s_mul_hi_u32 s30, s22, s21
	v_cvt_f32_u32_e32 v1, s28
	s_add_i32 s1, s30, s1
	s_mul_i32 s30, s23, s21
	s_add_i32 s30, s1, s30
	s_mul_i32 s1, s31, s26
	s_mul_hi_u32 s33, s31, s3
	s_mul_i32 s0, s0, s3
	s_add_i32 s1, s33, s1
	s_add_i32 s39, s1, s0
	s_lshl_b64 s[0:1], s[34:35], 2
	v_rcp_iflag_f32_e32 v1, v1
	s_mul_i32 s40, s31, s3
	s_waitcnt lgkmcnt(0)
	s_add_u32 s31, s8, s0
	s_addc_u32 s8, s9, s1
	s_lshl_b64 s[0:1], s[6:7], 2
	s_add_u32 s33, s10, s0
	s_addc_u32 s0, s11, s1
	v_mul_f32_e32 v1, 0x4f7ffffe, v1
	s_add_u32 s34, s12, s37
	v_cvt_u32_f32_e32 v1, v1
	s_addc_u32 s35, s13, s36
	s_add_u32 s36, s14, s40
	s_load_dwordx4 s[16:19], s[4:5], 0x40
	s_addc_u32 s37, s15, s39
	s_sub_i32 s1, 0, s28
	v_mul_lo_u32 v2, s1, v1
	s_load_dword s1, s[4:5], 0x5c
	s_waitcnt lgkmcnt(0)
	s_load_dword s40, s[16:17], 0x0
	s_load_dword s41, s[18:19], 0x0
	s_mul_i32 s2, s21, s20
	v_mul_hi_u32 v2, v1, v2
	s_mul_i32 s38, s2, s38
	s_mul_i32 s39, s22, s21
	s_and_b32 s42, s1, 0xffff
	v_add_u32_e32 v7, v1, v2
	v_mov_b32_e32 v3, 0
	s_sub_i32 s43, 0, s3
	s_sub_i32 s21, 0, s21
	s_mov_b64 s[4:5], 0
	v_mov_b32_e32 v8, s8
	v_mov_b32_e32 v9, s0
	s_mov_b64 s[6:7], 0x7f800000
	s_movk_i32 s44, 0x80
	s_mov_b64 s[8:9], 0x43e00001
	s_movk_i32 s45, 0x7a
	;; [unrolled: 2-line block ×3, first 2 shown]
	v_mov_b32_e32 v10, 0x78
	v_mov_b32_e32 v11, 0xffffff82
	s_branch .LBB11_7
.LBB11_6:                               ;   in Loop: Header=BB11_7 Depth=1
	s_or_b64 exec, exec, s[0:1]
	v_mul_lo_u32 v4, v13, s20
	v_mul_lo_u32 v1, v1, s20
	v_mov_b32_e32 v5, s37
	v_add_u32_e32 v0, s42, v0
	v_ashrrev_i32_e32 v6, 31, v4
	v_add_co_u32_e32 v4, vcc, s36, v4
	v_addc_co_u32_e32 v5, vcc, v5, v6, vcc
	v_ashrrev_i32_e32 v12, 31, v1
	v_add_co_u32_e32 v1, vcc, v4, v1
	v_addc_co_u32_e32 v5, vcc, v5, v12, vcc
	v_mov_b32_e32 v6, s23
	v_add_co_u32_e32 v4, vcc, s22, v1
	v_addc_co_u32_e32 v5, vcc, v5, v6, vcc
	v_cmp_le_i32_e32 vcc, s24, v0
	s_or_b64 s[4:5], vcc, s[4:5]
	global_store_byte v[4:5], v2, off
	s_andn2_b64 exec, exec, s[4:5]
	s_cbranch_execz .LBB11_47
.LBB11_7:                               ; =>This Inner Loop Header: Depth=1
	v_ashrrev_i32_e32 v1, 31, v0
	v_lshlrev_b64 v[4:5], 2, v[0:1]
	v_add_co_u32_e32 v12, vcc, s31, v4
	v_addc_co_u32_e32 v13, vcc, v8, v5, vcc
	global_load_dword v2, v[12:13], off
	v_add_co_u32_e32 v4, vcc, s33, v4
	v_addc_co_u32_e32 v5, vcc, v9, v5, vcc
	global_load_dword v12, v[4:5], off
	s_waitcnt vmcnt(1) lgkmcnt(0)
	v_div_scale_f32 v4, s[0:1], s40, s40, v2
	v_div_scale_f32 v5, vcc, v2, s40, v2
	v_rcp_f32_e32 v6, v4
	v_fma_f32 v13, -v4, v6, 1.0
	v_fmac_f32_e32 v6, v13, v6
	v_mul_f32_e32 v13, v5, v6
	v_fma_f32 v14, -v4, v13, v5
	v_fmac_f32_e32 v13, v14, v6
	v_fma_f32 v4, -v4, v13, v5
	v_div_fmas_f32 v4, v4, v6, v13
                                        ; implicit-def: $vgpr5
	v_div_fixup_f32 v4, v4, s40, v2
	v_and_b32_e32 v2, 0x7f800000, v4
	v_cmp_ne_u64_e32 vcc, s[6:7], v[2:3]
	s_and_saveexec_b64 s[0:1], vcc
	s_xor_b64 s[12:13], exec, s[0:1]
	s_cbranch_execz .LBB11_25
; %bb.8:                                ;   in Loop: Header=BB11_7 Depth=1
	v_and_b32_e32 v2, 0x7fffffff, v4
	v_cmp_gt_u64_e32 vcc, s[8:9], v[2:3]
	v_and_b32_sdwa v13, v4, s44 dst_sel:DWORD dst_unused:UNUSED_PAD src0_sel:BYTE_3 src1_sel:DWORD
                                        ; implicit-def: $vgpr5
	s_and_saveexec_b64 s[0:1], vcc
	s_xor_b64 s[14:15], exec, s[0:1]
	s_cbranch_execz .LBB11_22
; %bb.9:                                ;   in Loop: Header=BB11_7 Depth=1
	v_cmp_ne_u32_e32 vcc, 0, v4
	v_mov_b32_e32 v5, 0
	s_and_saveexec_b64 s[16:17], vcc
	s_cbranch_execz .LBB11_21
; %bb.10:                               ;   in Loop: Header=BB11_7 Depth=1
	v_bfe_u32 v14, v4, 23, 8
	v_and_b32_e32 v2, 0x7fffff, v4
	v_sub_u32_e32 v4, 0x79, v14
	v_cmp_gt_u32_e32 vcc, s45, v14
	v_cndmask_b32_e32 v4, 0, v4, vcc
	v_cmp_eq_u32_e32 vcc, 0, v14
	v_cndmask_b32_e32 v15, v4, v10, vcc
	v_add_u32_e32 v4, 20, v15
	v_or_b32_e32 v6, 0x800000, v2
	v_lshlrev_b64 v[4:5], v4, -1
	v_cndmask_b32_e32 v2, v6, v2, vcc
	v_bfi_b32 v16, v4, 0, v2
	v_add_u32_e32 v4, 19, v15
	v_bfi_b32 v17, v5, 0, 0
	v_lshlrev_b64 v[18:19], v4, 1
	v_lshrrev_b64 v[4:5], v15, v[2:3]
	v_cmp_eq_u64_e64 s[0:1], v[16:17], v[18:19]
	v_mov_b32_e32 v6, v5
	v_mov_b32_e32 v5, v4
	s_and_saveexec_b64 s[18:19], s[0:1]
; %bb.11:                               ;   in Loop: Header=BB11_7 Depth=1
	v_bfe_u32 v2, v4, 20, 1
	v_add_co_u32_e64 v2, s[0:1], v4, v2
	v_add_co_u32_e64 v5, s[0:1], -1, v2
; %bb.12:                               ;   in Loop: Header=BB11_7 Depth=1
	s_or_b64 exec, exec, s[18:19]
	v_add_u32_e32 v2, 0xffffff81, v14
	v_cndmask_b32_e32 v2, v2, v11, vcc
	v_lshrrev_b32_e32 v6, 23, v4
	v_add3_u32 v15, v15, v2, v6
	v_add_u32_e32 v14, 6, v15
	v_and_b32_e32 v2, 0xfffff, v5
	v_add_u32_e32 v2, v2, v4
	v_cmp_ne_u32_e32 vcc, 0, v14
                                        ; implicit-def: $vgpr4_vgpr5
                                        ; implicit-def: $vgpr6
	s_and_saveexec_b64 s[0:1], vcc
	s_xor_b64 s[0:1], exec, s[0:1]
; %bb.13:                               ;   in Loop: Header=BB11_7 Depth=1
	v_cmp_lt_u64_e32 vcc, s[10:11], v[2:3]
	v_add_u32_e32 v4, 7, v15
	v_cndmask_b32_e32 v6, v14, v4, vcc
	v_cndmask_b32_e64 v4, 0, 1, vcc
	v_lshrrev_b64 v[4:5], v4, v[2:3]
; %bb.14:                               ;   in Loop: Header=BB11_7 Depth=1
	s_andn2_saveexec_b64 s[0:1], s[0:1]
; %bb.15:                               ;   in Loop: Header=BB11_7 Depth=1
	v_mov_b32_e32 v5, v3
	v_bfe_u32 v6, v2, 23, 1
	v_mov_b32_e32 v4, v2
; %bb.16:                               ;   in Loop: Header=BB11_7 Depth=1
	s_or_b64 exec, exec, s[0:1]
	v_lshrrev_b64 v[4:5], 20, v[4:5]
	v_cmp_gt_i32_e32 vcc, 16, v6
	v_cndmask_b32_e32 v5, 0, v5, vcc
	v_cndmask_b32_e32 v4, 7, v4, vcc
	v_cmp_ne_u64_e32 vcc, 0, v[4:5]
	v_cmp_ne_u32_e64 s[0:1], 0, v6
	s_or_b64 s[0:1], s[0:1], vcc
                                        ; implicit-def: $vgpr5
	s_and_saveexec_b64 s[18:19], s[0:1]
	s_xor_b64 s[0:1], exec, s[18:19]
; %bb.17:                               ;   in Loop: Header=BB11_7 Depth=1
	v_min_i32_e32 v2, 15, v6
	v_lshl_or_b32 v2, v2, 3, v13
	v_and_or_b32 v5, v4, 7, v2
                                        ; implicit-def: $vgpr13
; %bb.18:                               ;   in Loop: Header=BB11_7 Depth=1
	s_andn2_saveexec_b64 s[0:1], s[0:1]
; %bb.19:                               ;   in Loop: Header=BB11_7 Depth=1
	v_mov_b32_e32 v5, v13
; %bb.20:                               ;   in Loop: Header=BB11_7 Depth=1
	s_or_b64 exec, exec, s[0:1]
.LBB11_21:                              ;   in Loop: Header=BB11_7 Depth=1
	s_or_b64 exec, exec, s[16:17]
                                        ; implicit-def: $vgpr13
.LBB11_22:                              ;   in Loop: Header=BB11_7 Depth=1
	s_andn2_saveexec_b64 s[0:1], s[14:15]
; %bb.23:                               ;   in Loop: Header=BB11_7 Depth=1
	v_or_b32_e32 v5, 0x7e, v13
; %bb.24:                               ;   in Loop: Header=BB11_7 Depth=1
	s_or_b64 exec, exec, s[0:1]
                                        ; implicit-def: $vgpr4
.LBB11_25:                              ;   in Loop: Header=BB11_7 Depth=1
	s_andn2_saveexec_b64 s[0:1], s[12:13]
; %bb.26:                               ;   in Loop: Header=BB11_7 Depth=1
	v_or_b32_sdwa v5, v4, s46 dst_sel:DWORD dst_unused:UNUSED_PAD src0_sel:BYTE_3 src1_sel:DWORD
; %bb.27:                               ;   in Loop: Header=BB11_7 Depth=1
	s_or_b64 exec, exec, s[0:1]
	v_sub_u32_e32 v2, 0, v0
	v_max_i32_e32 v2, v0, v2
	v_mul_hi_u32 v4, v2, v7
	v_xor_b32_e32 v1, s26, v1
	s_waitcnt vmcnt(0)
	v_div_scale_f32 v16, s[0:1], s41, s41, v12
	v_mul_lo_u32 v6, v4, s28
	v_add_u32_e32 v13, 1, v4
	v_sub_u32_e32 v2, v2, v6
	v_cmp_le_u32_e32 vcc, s28, v2
	v_subrev_u32_e32 v6, s28, v2
	v_cndmask_b32_e32 v4, v4, v13, vcc
	v_cndmask_b32_e32 v2, v2, v6, vcc
	v_add_u32_e32 v6, 1, v4
	v_cmp_le_u32_e32 vcc, s28, v2
	v_cndmask_b32_e32 v2, v4, v6, vcc
	v_xor_b32_e32 v2, v2, v1
	v_sub_u32_e32 v4, v2, v1
	v_mad_u64_u32 v[1:2], s[0:1], s43, v4, v[0:1]
	v_mul_lo_u32 v13, v4, s3
	v_div_scale_f32 v17, vcc, v12, s41, v12
	v_ashrrev_i32_e32 v2, 31, v1
	v_sub_u32_e32 v6, v2, v13
	v_add_u32_e32 v6, v0, v6
	v_xor_b32_e32 v6, v6, v2
	v_mul_hi_u32 v14, v6, s29
	v_xor_b32_e32 v2, s27, v2
	v_mul_lo_u32 v4, s38, v4
	v_mul_lo_u32 v15, v14, s25
	v_add_u32_e32 v18, 1, v14
	v_sub_u32_e32 v6, v6, v15
	v_cmp_le_u32_e64 s[0:1], s25, v6
	v_subrev_u32_e32 v15, s25, v6
	v_cndmask_b32_e64 v14, v14, v18, s[0:1]
	v_cndmask_b32_e64 v6, v6, v15, s[0:1]
	v_add_u32_e32 v15, 1, v14
	v_cmp_le_u32_e64 s[0:1], s25, v6
	v_cndmask_b32_e64 v6, v14, v15, s[0:1]
	v_xor_b32_e32 v6, v6, v2
	v_sub_u32_e32 v2, v6, v2
	v_rcp_f32_e32 v6, v16
	v_mad_u64_u32 v[14:15], s[0:1], s21, v2, v[1:2]
	v_mul_lo_u32 v2, s2, v2
	v_fma_f32 v18, -v16, v6, 1.0
	v_fmac_f32_e32 v6, v18, v6
	v_mul_f32_e32 v18, v17, v6
	v_fma_f32 v19, -v16, v18, v17
	v_fmac_f32_e32 v18, v19, v6
	v_fma_f32 v16, -v16, v18, v17
	v_div_fmas_f32 v6, v16, v6, v18
	v_ashrrev_i32_e32 v15, 31, v4
	v_mov_b32_e32 v16, s35
	v_add_co_u32_e32 v4, vcc, s34, v4
	v_addc_co_u32_e32 v15, vcc, v16, v15, vcc
	v_ashrrev_i32_e32 v19, 31, v2
	v_add_co_u32_e32 v2, vcc, v4, v2
	v_addc_co_u32_e32 v4, vcc, v15, v19, vcc
	v_mov_b32_e32 v15, s30
	v_add_co_u32_e32 v2, vcc, s39, v2
	v_addc_co_u32_e32 v4, vcc, v4, v15, vcc
	v_ashrrev_i32_e32 v17, 31, v14
	v_add_co_u32_e32 v14, vcc, v2, v14
	v_addc_co_u32_e32 v15, vcc, v4, v17, vcc
	v_div_fixup_f32 v4, v6, s41, v12
	v_and_b32_e32 v2, 0x7f800000, v4
	v_cmp_ne_u64_e32 vcc, s[6:7], v[2:3]
	global_store_byte v[14:15], v5, off
                                        ; implicit-def: $vgpr2
	s_and_saveexec_b64 s[0:1], vcc
	s_xor_b64 s[12:13], exec, s[0:1]
	s_cbranch_execz .LBB11_45
; %bb.28:                               ;   in Loop: Header=BB11_7 Depth=1
	v_and_b32_e32 v2, 0x7fffffff, v4
	v_cmp_gt_u64_e32 vcc, s[8:9], v[2:3]
	v_and_b32_sdwa v12, v4, s44 dst_sel:DWORD dst_unused:UNUSED_PAD src0_sel:BYTE_3 src1_sel:DWORD
                                        ; implicit-def: $vgpr2
	s_and_saveexec_b64 s[0:1], vcc
	s_xor_b64 s[14:15], exec, s[0:1]
	s_cbranch_execz .LBB11_42
; %bb.29:                               ;   in Loop: Header=BB11_7 Depth=1
	v_cmp_ne_u32_e32 vcc, 0, v4
	v_mov_b32_e32 v2, 0
	s_and_saveexec_b64 s[16:17], vcc
	s_cbranch_execz .LBB11_41
; %bb.30:                               ;   in Loop: Header=BB11_7 Depth=1
	v_bfe_u32 v14, v4, 23, 8
	v_and_b32_e32 v2, 0x7fffff, v4
	v_sub_u32_e32 v4, 0x79, v14
	v_cmp_gt_u32_e32 vcc, s45, v14
	v_cndmask_b32_e32 v4, 0, v4, vcc
	v_cmp_eq_u32_e32 vcc, 0, v14
	v_cndmask_b32_e32 v15, v4, v10, vcc
	v_add_u32_e32 v4, 20, v15
	v_or_b32_e32 v6, 0x800000, v2
	v_lshlrev_b64 v[4:5], v4, -1
	v_cndmask_b32_e32 v2, v6, v2, vcc
	v_bfi_b32 v16, v4, 0, v2
	v_add_u32_e32 v4, 19, v15
	v_bfi_b32 v17, v5, 0, 0
	v_lshlrev_b64 v[18:19], v4, 1
	v_lshrrev_b64 v[4:5], v15, v[2:3]
	v_cmp_eq_u64_e64 s[0:1], v[16:17], v[18:19]
	v_mov_b32_e32 v6, v5
	v_mov_b32_e32 v5, v4
	s_and_saveexec_b64 s[18:19], s[0:1]
; %bb.31:                               ;   in Loop: Header=BB11_7 Depth=1
	v_bfe_u32 v2, v4, 20, 1
	v_add_co_u32_e64 v2, s[0:1], v4, v2
	v_add_co_u32_e64 v5, s[0:1], -1, v2
; %bb.32:                               ;   in Loop: Header=BB11_7 Depth=1
	s_or_b64 exec, exec, s[18:19]
	v_add_u32_e32 v2, 0xffffff81, v14
	v_cndmask_b32_e32 v2, v2, v11, vcc
	v_lshrrev_b32_e32 v6, 23, v4
	v_add3_u32 v15, v15, v2, v6
	v_add_u32_e32 v14, 6, v15
	v_and_b32_e32 v2, 0xfffff, v5
	v_add_u32_e32 v2, v2, v4
	v_cmp_ne_u32_e32 vcc, 0, v14
                                        ; implicit-def: $vgpr4_vgpr5
                                        ; implicit-def: $vgpr6
	s_and_saveexec_b64 s[0:1], vcc
	s_xor_b64 s[0:1], exec, s[0:1]
; %bb.33:                               ;   in Loop: Header=BB11_7 Depth=1
	v_cmp_lt_u64_e32 vcc, s[10:11], v[2:3]
	v_add_u32_e32 v4, 7, v15
	v_cndmask_b32_e32 v6, v14, v4, vcc
	v_cndmask_b32_e64 v4, 0, 1, vcc
	v_lshrrev_b64 v[4:5], v4, v[2:3]
; %bb.34:                               ;   in Loop: Header=BB11_7 Depth=1
	s_andn2_saveexec_b64 s[0:1], s[0:1]
; %bb.35:                               ;   in Loop: Header=BB11_7 Depth=1
	v_mov_b32_e32 v5, v3
	v_bfe_u32 v6, v2, 23, 1
	v_mov_b32_e32 v4, v2
; %bb.36:                               ;   in Loop: Header=BB11_7 Depth=1
	s_or_b64 exec, exec, s[0:1]
	v_lshrrev_b64 v[4:5], 20, v[4:5]
	v_cmp_gt_i32_e32 vcc, 16, v6
	v_cndmask_b32_e32 v5, 0, v5, vcc
	v_cndmask_b32_e32 v4, 7, v4, vcc
	v_cmp_ne_u64_e32 vcc, 0, v[4:5]
	v_cmp_ne_u32_e64 s[0:1], 0, v6
	s_or_b64 s[0:1], s[0:1], vcc
                                        ; implicit-def: $vgpr2
	s_and_saveexec_b64 s[18:19], s[0:1]
	s_xor_b64 s[0:1], exec, s[18:19]
; %bb.37:                               ;   in Loop: Header=BB11_7 Depth=1
	v_min_i32_e32 v2, 15, v6
	v_lshl_or_b32 v2, v2, 3, v12
	v_and_or_b32 v2, v4, 7, v2
                                        ; implicit-def: $vgpr12
; %bb.38:                               ;   in Loop: Header=BB11_7 Depth=1
	s_andn2_saveexec_b64 s[0:1], s[0:1]
; %bb.39:                               ;   in Loop: Header=BB11_7 Depth=1
	v_mov_b32_e32 v2, v12
; %bb.40:                               ;   in Loop: Header=BB11_7 Depth=1
	s_or_b64 exec, exec, s[0:1]
.LBB11_41:                              ;   in Loop: Header=BB11_7 Depth=1
	s_or_b64 exec, exec, s[16:17]
                                        ; implicit-def: $vgpr12
.LBB11_42:                              ;   in Loop: Header=BB11_7 Depth=1
	s_andn2_saveexec_b64 s[0:1], s[14:15]
; %bb.43:                               ;   in Loop: Header=BB11_7 Depth=1
	v_or_b32_e32 v2, 0x7e, v12
; %bb.44:                               ;   in Loop: Header=BB11_7 Depth=1
	s_or_b64 exec, exec, s[0:1]
                                        ; implicit-def: $vgpr4
.LBB11_45:                              ;   in Loop: Header=BB11_7 Depth=1
	s_andn2_saveexec_b64 s[0:1], s[12:13]
	s_cbranch_execz .LBB11_6
; %bb.46:                               ;   in Loop: Header=BB11_7 Depth=1
	v_or_b32_sdwa v2, v4, s46 dst_sel:DWORD dst_unused:UNUSED_PAD src0_sel:BYTE_3 src1_sel:DWORD
	s_branch .LBB11_6
.LBB11_47:
	s_endpgm
.LBB11_48:
                                        ; implicit-def: $sgpr22_sgpr23
	s_branch .LBB11_3
	.section	.rodata,"a",@progbits
	.p2align	6, 0x0
	.amdhsa_kernel _ZN4vllm24reshape_and_cache_kernelIfhLNS_18Fp8KVCacheDataTypeE1EEEvPKT_S4_PT0_S6_PKliiiiiiPKfSA_
		.amdhsa_group_segment_fixed_size 0
		.amdhsa_private_segment_fixed_size 0
		.amdhsa_kernarg_size 336
		.amdhsa_user_sgpr_count 6
		.amdhsa_user_sgpr_private_segment_buffer 1
		.amdhsa_user_sgpr_dispatch_ptr 0
		.amdhsa_user_sgpr_queue_ptr 0
		.amdhsa_user_sgpr_kernarg_segment_ptr 1
		.amdhsa_user_sgpr_dispatch_id 0
		.amdhsa_user_sgpr_flat_scratch_init 0
		.amdhsa_user_sgpr_private_segment_size 0
		.amdhsa_uses_dynamic_stack 0
		.amdhsa_system_sgpr_private_segment_wavefront_offset 0
		.amdhsa_system_sgpr_workgroup_id_x 1
		.amdhsa_system_sgpr_workgroup_id_y 0
		.amdhsa_system_sgpr_workgroup_id_z 0
		.amdhsa_system_sgpr_workgroup_info 0
		.amdhsa_system_vgpr_workitem_id 0
		.amdhsa_next_free_vgpr 20
		.amdhsa_next_free_sgpr 47
		.amdhsa_reserve_vcc 1
		.amdhsa_reserve_flat_scratch 0
		.amdhsa_float_round_mode_32 0
		.amdhsa_float_round_mode_16_64 0
		.amdhsa_float_denorm_mode_32 3
		.amdhsa_float_denorm_mode_16_64 3
		.amdhsa_dx10_clamp 1
		.amdhsa_ieee_mode 1
		.amdhsa_fp16_overflow 0
		.amdhsa_exception_fp_ieee_invalid_op 0
		.amdhsa_exception_fp_denorm_src 0
		.amdhsa_exception_fp_ieee_div_zero 0
		.amdhsa_exception_fp_ieee_overflow 0
		.amdhsa_exception_fp_ieee_underflow 0
		.amdhsa_exception_fp_ieee_inexact 0
		.amdhsa_exception_int_div_zero 0
	.end_amdhsa_kernel
	.section	.text._ZN4vllm24reshape_and_cache_kernelIfhLNS_18Fp8KVCacheDataTypeE1EEEvPKT_S4_PT0_S6_PKliiiiiiPKfSA_,"axG",@progbits,_ZN4vllm24reshape_and_cache_kernelIfhLNS_18Fp8KVCacheDataTypeE1EEEvPKT_S4_PT0_S6_PKliiiiiiPKfSA_,comdat
.Lfunc_end11:
	.size	_ZN4vllm24reshape_and_cache_kernelIfhLNS_18Fp8KVCacheDataTypeE1EEEvPKT_S4_PT0_S6_PKliiiiiiPKfSA_, .Lfunc_end11-_ZN4vllm24reshape_and_cache_kernelIfhLNS_18Fp8KVCacheDataTypeE1EEEvPKT_S4_PT0_S6_PKliiiiiiPKfSA_
                                        ; -- End function
	.set _ZN4vllm24reshape_and_cache_kernelIfhLNS_18Fp8KVCacheDataTypeE1EEEvPKT_S4_PT0_S6_PKliiiiiiPKfSA_.num_vgpr, 20
	.set _ZN4vllm24reshape_and_cache_kernelIfhLNS_18Fp8KVCacheDataTypeE1EEEvPKT_S4_PT0_S6_PKliiiiiiPKfSA_.num_agpr, 0
	.set _ZN4vllm24reshape_and_cache_kernelIfhLNS_18Fp8KVCacheDataTypeE1EEEvPKT_S4_PT0_S6_PKliiiiiiPKfSA_.numbered_sgpr, 47
	.set _ZN4vllm24reshape_and_cache_kernelIfhLNS_18Fp8KVCacheDataTypeE1EEEvPKT_S4_PT0_S6_PKliiiiiiPKfSA_.num_named_barrier, 0
	.set _ZN4vllm24reshape_and_cache_kernelIfhLNS_18Fp8KVCacheDataTypeE1EEEvPKT_S4_PT0_S6_PKliiiiiiPKfSA_.private_seg_size, 0
	.set _ZN4vllm24reshape_and_cache_kernelIfhLNS_18Fp8KVCacheDataTypeE1EEEvPKT_S4_PT0_S6_PKliiiiiiPKfSA_.uses_vcc, 1
	.set _ZN4vllm24reshape_and_cache_kernelIfhLNS_18Fp8KVCacheDataTypeE1EEEvPKT_S4_PT0_S6_PKliiiiiiPKfSA_.uses_flat_scratch, 0
	.set _ZN4vllm24reshape_and_cache_kernelIfhLNS_18Fp8KVCacheDataTypeE1EEEvPKT_S4_PT0_S6_PKliiiiiiPKfSA_.has_dyn_sized_stack, 0
	.set _ZN4vllm24reshape_and_cache_kernelIfhLNS_18Fp8KVCacheDataTypeE1EEEvPKT_S4_PT0_S6_PKliiiiiiPKfSA_.has_recursion, 0
	.set _ZN4vllm24reshape_and_cache_kernelIfhLNS_18Fp8KVCacheDataTypeE1EEEvPKT_S4_PT0_S6_PKliiiiiiPKfSA_.has_indirect_call, 0
	.section	.AMDGPU.csdata,"",@progbits
; Kernel info:
; codeLenInByte = 2728
; TotalNumSgprs: 51
; NumVgprs: 20
; ScratchSize: 0
; MemoryBound: 0
; FloatMode: 240
; IeeeMode: 1
; LDSByteSize: 0 bytes/workgroup (compile time only)
; SGPRBlocks: 6
; VGPRBlocks: 4
; NumSGPRsForWavesPerEU: 51
; NumVGPRsForWavesPerEU: 20
; Occupancy: 10
; WaveLimiterHint : 1
; COMPUTE_PGM_RSRC2:SCRATCH_EN: 0
; COMPUTE_PGM_RSRC2:USER_SGPR: 6
; COMPUTE_PGM_RSRC2:TRAP_HANDLER: 0
; COMPUTE_PGM_RSRC2:TGID_X_EN: 1
; COMPUTE_PGM_RSRC2:TGID_Y_EN: 0
; COMPUTE_PGM_RSRC2:TGID_Z_EN: 0
; COMPUTE_PGM_RSRC2:TIDIG_COMP_CNT: 0
	.section	.text._ZN4vllm24reshape_and_cache_kernelIthLNS_18Fp8KVCacheDataTypeE1EEEvPKT_S4_PT0_S6_PKliiiiiiPKfSA_,"axG",@progbits,_ZN4vllm24reshape_and_cache_kernelIthLNS_18Fp8KVCacheDataTypeE1EEEvPKT_S4_PT0_S6_PKliiiiiiPKfSA_,comdat
	.protected	_ZN4vllm24reshape_and_cache_kernelIthLNS_18Fp8KVCacheDataTypeE1EEEvPKT_S4_PT0_S6_PKliiiiiiPKfSA_ ; -- Begin function _ZN4vllm24reshape_and_cache_kernelIthLNS_18Fp8KVCacheDataTypeE1EEEvPKT_S4_PT0_S6_PKliiiiiiPKfSA_
	.globl	_ZN4vllm24reshape_and_cache_kernelIthLNS_18Fp8KVCacheDataTypeE1EEEvPKT_S4_PT0_S6_PKliiiiiiPKfSA_
	.p2align	8
	.type	_ZN4vllm24reshape_and_cache_kernelIthLNS_18Fp8KVCacheDataTypeE1EEEvPKT_S4_PT0_S6_PKliiiiiiPKfSA_,@function
_ZN4vllm24reshape_and_cache_kernelIthLNS_18Fp8KVCacheDataTypeE1EEEvPKT_S4_PT0_S6_PKliiiiiiPKfSA_: ; @_ZN4vllm24reshape_and_cache_kernelIthLNS_18Fp8KVCacheDataTypeE1EEEvPKT_S4_PT0_S6_PKliiiiiiPKfSA_
; %bb.0:
	s_load_dwordx2 s[0:1], s[4:5], 0x20
	s_mov_b32 s7, 0
	s_lshl_b64 s[2:3], s[6:7], 3
	s_waitcnt lgkmcnt(0)
	s_add_u32 s0, s0, s2
	s_addc_u32 s1, s1, s3
	s_load_dwordx2 s[16:17], s[0:1], 0x0
	s_waitcnt lgkmcnt(0)
	v_cmp_lt_i64_e64 s[0:1], s[16:17], 0
	s_and_b64 vcc, exec, s[0:1]
	s_cbranch_vccnz .LBB12_47
; %bb.1:
	s_load_dwordx2 s[20:21], s[4:5], 0x38
	s_load_dwordx4 s[0:3], s[4:5], 0x28
	s_waitcnt lgkmcnt(0)
	s_ashr_i32 s19, s20, 31
	s_mov_b32 s18, s20
	s_or_b64 s[8:9], s[16:17], s[18:19]
	s_mov_b32 s8, s7
	s_cmp_lg_u64 s[8:9], 0
	s_cbranch_scc0 .LBB12_48
; %bb.2:
	s_ashr_i32 s8, s19, 31
	s_add_u32 s10, s18, s8
	s_mov_b32 s9, s8
	s_addc_u32 s11, s19, s8
	s_xor_b64 s[12:13], s[10:11], s[8:9]
	v_cvt_f32_u32_e32 v1, s12
	v_cvt_f32_u32_e32 v2, s13
	s_sub_u32 s7, 0, s12
	s_subb_u32 s22, 0, s13
	v_madmk_f32 v1, v2, 0x4f800000, v1
	v_rcp_f32_e32 v1, v1
	v_mul_f32_e32 v1, 0x5f7ffffc, v1
	v_mul_f32_e32 v2, 0x2f800000, v1
	v_trunc_f32_e32 v2, v2
	v_madmk_f32 v1, v2, 0xcf800000, v1
	v_cvt_u32_f32_e32 v2, v2
	v_cvt_u32_f32_e32 v1, v1
	v_readfirstlane_b32 s23, v2
	v_readfirstlane_b32 s14, v1
	s_mul_i32 s15, s7, s23
	s_mul_hi_u32 s25, s7, s14
	s_mul_i32 s24, s22, s14
	s_add_i32 s15, s25, s15
	s_add_i32 s15, s15, s24
	s_mul_i32 s26, s7, s14
	s_mul_i32 s25, s14, s15
	s_mul_hi_u32 s27, s14, s26
	s_mul_hi_u32 s24, s14, s15
	s_add_u32 s25, s27, s25
	s_addc_u32 s24, 0, s24
	s_mul_hi_u32 s28, s23, s26
	s_mul_i32 s26, s23, s26
	s_add_u32 s25, s25, s26
	s_mul_hi_u32 s27, s23, s15
	s_addc_u32 s24, s24, s28
	s_addc_u32 s25, s27, 0
	s_mul_i32 s15, s23, s15
	s_add_u32 s15, s24, s15
	s_addc_u32 s24, 0, s25
	s_add_u32 s25, s14, s15
	s_cselect_b64 s[14:15], -1, 0
	s_cmp_lg_u64 s[14:15], 0
	s_addc_u32 s23, s23, s24
	s_mul_i32 s14, s7, s23
	s_mul_hi_u32 s15, s7, s25
	s_add_i32 s14, s15, s14
	s_mul_i32 s22, s22, s25
	s_add_i32 s14, s14, s22
	s_mul_i32 s7, s7, s25
	s_mul_hi_u32 s22, s23, s7
	s_mul_i32 s24, s23, s7
	s_mul_i32 s27, s25, s14
	s_mul_hi_u32 s7, s25, s7
	s_mul_hi_u32 s26, s25, s14
	s_add_u32 s7, s7, s27
	s_addc_u32 s26, 0, s26
	s_add_u32 s7, s7, s24
	s_mul_hi_u32 s15, s23, s14
	s_addc_u32 s7, s26, s22
	s_addc_u32 s15, s15, 0
	s_mul_i32 s14, s23, s14
	s_add_u32 s7, s7, s14
	s_addc_u32 s22, 0, s15
	s_add_u32 s7, s25, s7
	s_cselect_b64 s[14:15], -1, 0
	s_cmp_lg_u64 s[14:15], 0
	s_addc_u32 s24, s23, s22
	s_ashr_i32 s14, s17, 31
	s_add_u32 s22, s16, s14
	s_mov_b32 s15, s14
	s_addc_u32 s23, s17, s14
	s_xor_b64 s[22:23], s[22:23], s[14:15]
	s_mul_i32 s26, s22, s24
	s_mul_hi_u32 s27, s22, s7
	s_mul_hi_u32 s25, s22, s24
	s_add_u32 s26, s27, s26
	s_addc_u32 s25, 0, s25
	s_mul_hi_u32 s28, s23, s7
	s_mul_i32 s7, s23, s7
	s_add_u32 s7, s26, s7
	s_mul_hi_u32 s27, s23, s24
	s_addc_u32 s7, s25, s28
	s_addc_u32 s25, s27, 0
	s_mul_i32 s24, s23, s24
	s_add_u32 s7, s7, s24
	s_addc_u32 s28, 0, s25
	s_mul_i32 s24, s12, s28
	s_mul_hi_u32 s25, s12, s7
	s_add_i32 s24, s25, s24
	s_mul_i32 s25, s13, s7
	s_add_i32 s29, s24, s25
	s_sub_i32 s26, s23, s29
	s_mul_i32 s24, s12, s7
	s_sub_u32 s22, s22, s24
	s_cselect_b64 s[24:25], -1, 0
	s_cmp_lg_u64 s[24:25], 0
	s_subb_u32 s30, s26, s13
	s_sub_u32 s31, s22, s12
	s_cselect_b64 s[26:27], -1, 0
	s_cmp_lg_u64 s[26:27], 0
	s_subb_u32 s26, s30, 0
	s_cmp_ge_u32 s26, s13
	s_cselect_b32 s27, -1, 0
	s_cmp_ge_u32 s31, s12
	s_cselect_b32 s30, -1, 0
	s_cmp_eq_u32 s26, s13
	s_cselect_b32 s26, s30, s27
	s_add_u32 s27, s7, 1
	s_addc_u32 s30, s28, 0
	s_add_u32 s31, s7, 2
	s_addc_u32 s33, s28, 0
	s_cmp_lg_u32 s26, 0
	s_cselect_b32 s26, s31, s27
	s_cselect_b32 s27, s33, s30
	s_cmp_lg_u64 s[24:25], 0
	s_subb_u32 s23, s23, s29
	s_cmp_ge_u32 s23, s13
	s_cselect_b32 s24, -1, 0
	s_cmp_ge_u32 s22, s12
	s_cselect_b32 s12, -1, 0
	s_cmp_eq_u32 s23, s13
	s_cselect_b32 s12, s12, s24
	s_cmp_lg_u32 s12, 0
	s_cselect_b32 s13, s27, s28
	s_cselect_b32 s12, s26, s7
	s_xor_b64 s[8:9], s[14:15], s[8:9]
	s_xor_b64 s[12:13], s[12:13], s[8:9]
	s_sub_u32 s22, s12, s8
	s_subb_u32 s23, s13, s9
	s_cbranch_execnz .LBB12_4
.LBB12_3:
	v_cvt_f32_u32_e32 v1, s18
	s_sub_i32 s7, 0, s18
	s_mov_b32 s23, 0
	v_rcp_iflag_f32_e32 v1, v1
	v_mul_f32_e32 v1, 0x4f7ffffe, v1
	v_cvt_u32_f32_e32 v1, v1
	v_readfirstlane_b32 s8, v1
	s_mul_i32 s7, s7, s8
	s_mul_hi_u32 s7, s8, s7
	s_add_i32 s8, s8, s7
	s_mul_hi_u32 s7, s16, s8
	s_mul_i32 s9, s7, s18
	s_sub_i32 s9, s16, s9
	s_add_i32 s8, s7, 1
	s_sub_i32 s10, s9, s18
	s_cmp_ge_u32 s9, s18
	s_cselect_b32 s7, s8, s7
	s_cselect_b32 s9, s10, s9
	s_add_i32 s8, s7, 1
	s_cmp_ge_u32 s9, s18
	s_cselect_b32 s22, s8, s7
.LBB12_4:
	s_mul_i32 s24, s3, s2
	v_cmp_gt_i32_e32 vcc, s24, v0
	s_and_saveexec_b64 s[8:9], vcc
	s_cbranch_execz .LBB12_47
; %bb.5:
	s_mul_i32 s7, s22, s19
	s_mul_hi_u32 s19, s22, s18
	s_add_i32 s7, s19, s7
	s_mul_i32 s19, s23, s18
	s_add_i32 s30, s7, s19
	s_mul_i32 s31, s22, s18
	s_sub_u32 s22, s16, s31
	s_subb_u32 s23, s17, s30
	s_ashr_i32 s7, s0, 31
	s_mul_hi_u32 s25, s0, s6
	s_mul_i32 s7, s7, s6
	s_add_i32 s35, s25, s7
	s_abs_i32 s25, s21
	v_cvt_f32_u32_e32 v1, s25
	s_sub_i32 s29, 0, s25
	s_abs_i32 s28, s3
	s_mul_i32 s34, s0, s6
	v_rcp_iflag_f32_e32 v1, v1
	s_ashr_i32 s0, s1, 31
	s_mul_hi_u32 s7, s1, s6
	s_mul_i32 s0, s0, s6
	v_mul_f32_e32 v1, 0x4f7ffffe, v1
	v_cvt_u32_f32_e32 v1, v1
	s_ashr_i32 s26, s3, 31
	s_ashr_i32 s27, s21, 31
	s_add_i32 s7, s7, s0
	v_readfirstlane_b32 s33, v1
	s_mul_i32 s29, s29, s33
	s_mul_hi_u32 s29, s33, s29
	s_add_i32 s29, s33, s29
	s_mul_hi_u32 s33, s28, s29
	s_mul_i32 s36, s33, s25
	s_sub_i32 s36, s28, s36
	s_mul_i32 s6, s1, s6
	s_ashr_i32 s0, s2, 31
	s_xor_b32 s1, s26, s27
	s_add_i32 s37, s33, 1
	s_sub_i32 s38, s36, s25
	s_cmp_ge_u32 s36, s25
	s_cselect_b32 s33, s37, s33
	s_cselect_b32 s36, s38, s36
	s_add_i32 s37, s33, 1
	s_cmp_ge_u32 s36, s25
	s_cselect_b32 s33, s37, s33
	s_xor_b32 s33, s33, s1
	s_sub_i32 s38, s33, s1
	s_mul_i32 s0, s31, s0
	s_mul_hi_u32 s33, s31, s2
	s_mul_i32 s30, s30, s2
	s_add_i32 s0, s33, s0
	s_mul_i32 s31, s31, s2
	s_add_i32 s0, s0, s30
	s_mul_i32 s30, s31, s27
	s_mul_hi_u32 s33, s31, s21
	s_mul_i32 s2, s0, s21
	s_add_i32 s30, s33, s30
	s_ashr_i32 s1, s38, 31
	s_add_i32 s2, s30, s2
	s_mul_i32 s30, s31, s21
	s_mul_i32 s1, s30, s1
	s_mul_hi_u32 s33, s30, s38
	s_add_i32 s1, s33, s1
	s_mul_i32 s2, s2, s38
	s_load_dwordx8 s[8:15], s[4:5], 0x0
	s_add_i32 s36, s1, s2
	s_mul_i32 s37, s30, s38
	s_mul_i32 s1, s22, s27
	s_mul_hi_u32 s30, s22, s21
	v_cvt_f32_u32_e32 v1, s28
	s_add_i32 s1, s30, s1
	s_mul_i32 s30, s23, s21
	s_add_i32 s30, s1, s30
	s_mul_i32 s1, s31, s26
	s_mul_hi_u32 s33, s31, s3
	s_mul_i32 s0, s0, s3
	s_add_i32 s1, s33, s1
	s_add_i32 s39, s1, s0
	s_lshl_b64 s[0:1], s[34:35], 1
	v_rcp_iflag_f32_e32 v1, v1
	s_mul_i32 s40, s31, s3
	s_waitcnt lgkmcnt(0)
	s_add_u32 s31, s8, s0
	s_addc_u32 s8, s9, s1
	s_lshl_b64 s[0:1], s[6:7], 1
	s_add_u32 s33, s10, s0
	s_addc_u32 s0, s11, s1
	v_mul_f32_e32 v1, 0x4f7ffffe, v1
	s_add_u32 s34, s12, s37
	v_cvt_u32_f32_e32 v1, v1
	s_addc_u32 s35, s13, s36
	s_add_u32 s36, s14, s40
	s_load_dwordx4 s[16:19], s[4:5], 0x40
	s_addc_u32 s37, s15, s39
	s_sub_i32 s1, 0, s28
	v_mul_lo_u32 v2, s1, v1
	s_load_dword s1, s[4:5], 0x5c
	s_waitcnt lgkmcnt(0)
	s_load_dword s40, s[16:17], 0x0
	s_load_dword s41, s[18:19], 0x0
	s_mul_i32 s2, s21, s20
	v_mul_hi_u32 v2, v1, v2
	s_mul_i32 s38, s2, s38
	s_mul_i32 s39, s22, s21
	s_and_b32 s42, s1, 0xffff
	v_add_u32_e32 v7, v1, v2
	v_mov_b32_e32 v3, 0
	s_sub_i32 s43, 0, s3
	s_sub_i32 s21, 0, s21
	s_mov_b64 s[4:5], 0
	v_mov_b32_e32 v8, s8
	v_mov_b32_e32 v9, s0
	s_mov_b64 s[6:7], 0x7f800000
	s_movk_i32 s44, 0x80
	s_mov_b64 s[8:9], 0x43e00001
	s_movk_i32 s45, 0x7a
	;; [unrolled: 2-line block ×3, first 2 shown]
	v_mov_b32_e32 v10, 0x78
	v_mov_b32_e32 v11, 0xffffff82
	s_branch .LBB12_7
.LBB12_6:                               ;   in Loop: Header=BB12_7 Depth=1
	s_or_b64 exec, exec, s[0:1]
	v_mul_lo_u32 v4, v12, s20
	v_mul_lo_u32 v1, v1, s20
	v_mov_b32_e32 v5, s37
	v_add_u32_e32 v0, s42, v0
	v_ashrrev_i32_e32 v6, 31, v4
	v_add_co_u32_e32 v4, vcc, s36, v4
	v_addc_co_u32_e32 v5, vcc, v5, v6, vcc
	v_ashrrev_i32_e32 v12, 31, v1
	v_add_co_u32_e32 v1, vcc, v4, v1
	v_addc_co_u32_e32 v5, vcc, v5, v12, vcc
	v_mov_b32_e32 v6, s23
	v_add_co_u32_e32 v4, vcc, s22, v1
	v_addc_co_u32_e32 v5, vcc, v5, v6, vcc
	v_cmp_le_i32_e32 vcc, s24, v0
	s_or_b64 s[4:5], vcc, s[4:5]
	global_store_byte v[4:5], v2, off
	s_andn2_b64 exec, exec, s[4:5]
	s_cbranch_execz .LBB12_47
.LBB12_7:                               ; =>This Inner Loop Header: Depth=1
	v_ashrrev_i32_e32 v1, 31, v0
	v_lshlrev_b64 v[4:5], 1, v[0:1]
	v_add_co_u32_e32 v12, vcc, s31, v4
	v_addc_co_u32_e32 v13, vcc, v8, v5, vcc
	global_load_ushort v2, v[12:13], off
	v_add_co_u32_e32 v4, vcc, s33, v4
	v_addc_co_u32_e32 v5, vcc, v9, v5, vcc
	global_load_ushort v13, v[4:5], off
	s_waitcnt vmcnt(1)
	v_cvt_f32_f16_e32 v2, v2
	s_waitcnt lgkmcnt(0)
	v_div_scale_f32 v4, s[0:1], s40, s40, v2
	v_div_scale_f32 v5, vcc, v2, s40, v2
	v_rcp_f32_e32 v6, v4
	v_fma_f32 v12, -v4, v6, 1.0
	v_fmac_f32_e32 v6, v12, v6
	v_mul_f32_e32 v12, v5, v6
	v_fma_f32 v14, -v4, v12, v5
	v_fmac_f32_e32 v12, v14, v6
	v_fma_f32 v4, -v4, v12, v5
	v_div_fmas_f32 v4, v4, v6, v12
                                        ; implicit-def: $vgpr5
	v_div_fixup_f32 v2, v4, s40, v2
	v_cvt_f16_f32_e32 v2, v2
	v_cvt_f32_f16_e32 v4, v2
	v_and_b32_e32 v2, 0x7f800000, v4
	v_cmp_ne_u64_e32 vcc, s[6:7], v[2:3]
	s_and_saveexec_b64 s[0:1], vcc
	s_xor_b64 s[12:13], exec, s[0:1]
	s_cbranch_execz .LBB12_25
; %bb.8:                                ;   in Loop: Header=BB12_7 Depth=1
	v_and_b32_e32 v2, 0x7fffffff, v4
	v_cmp_gt_u64_e32 vcc, s[8:9], v[2:3]
	v_and_b32_sdwa v12, v4, s44 dst_sel:DWORD dst_unused:UNUSED_PAD src0_sel:BYTE_3 src1_sel:DWORD
                                        ; implicit-def: $vgpr5
	s_and_saveexec_b64 s[0:1], vcc
	s_xor_b64 s[14:15], exec, s[0:1]
	s_cbranch_execz .LBB12_22
; %bb.9:                                ;   in Loop: Header=BB12_7 Depth=1
	v_cmp_ne_u32_e32 vcc, 0, v4
	v_mov_b32_e32 v5, 0
	s_and_saveexec_b64 s[16:17], vcc
	s_cbranch_execz .LBB12_21
; %bb.10:                               ;   in Loop: Header=BB12_7 Depth=1
	v_bfe_u32 v14, v4, 23, 8
	v_and_b32_e32 v2, 0x7fffff, v4
	v_sub_u32_e32 v4, 0x79, v14
	v_cmp_gt_u32_e32 vcc, s45, v14
	v_cndmask_b32_e32 v4, 0, v4, vcc
	v_cmp_eq_u32_e32 vcc, 0, v14
	v_cndmask_b32_e32 v15, v4, v10, vcc
	v_add_u32_e32 v4, 20, v15
	v_or_b32_e32 v6, 0x800000, v2
	v_lshlrev_b64 v[4:5], v4, -1
	v_cndmask_b32_e32 v2, v6, v2, vcc
	v_bfi_b32 v16, v4, 0, v2
	v_add_u32_e32 v4, 19, v15
	v_bfi_b32 v17, v5, 0, 0
	v_lshlrev_b64 v[18:19], v4, 1
	v_lshrrev_b64 v[4:5], v15, v[2:3]
	v_cmp_eq_u64_e64 s[0:1], v[16:17], v[18:19]
	v_mov_b32_e32 v6, v5
	v_mov_b32_e32 v5, v4
	s_and_saveexec_b64 s[18:19], s[0:1]
; %bb.11:                               ;   in Loop: Header=BB12_7 Depth=1
	v_bfe_u32 v2, v4, 20, 1
	v_add_co_u32_e64 v2, s[0:1], v4, v2
	v_add_co_u32_e64 v5, s[0:1], -1, v2
; %bb.12:                               ;   in Loop: Header=BB12_7 Depth=1
	s_or_b64 exec, exec, s[18:19]
	v_add_u32_e32 v2, 0xffffff81, v14
	v_cndmask_b32_e32 v2, v2, v11, vcc
	v_lshrrev_b32_e32 v6, 23, v4
	v_add3_u32 v15, v15, v2, v6
	v_add_u32_e32 v14, 6, v15
	v_and_b32_e32 v2, 0xfffff, v5
	v_add_u32_e32 v2, v2, v4
	v_cmp_ne_u32_e32 vcc, 0, v14
                                        ; implicit-def: $vgpr4_vgpr5
                                        ; implicit-def: $vgpr6
	s_and_saveexec_b64 s[0:1], vcc
	s_xor_b64 s[0:1], exec, s[0:1]
; %bb.13:                               ;   in Loop: Header=BB12_7 Depth=1
	v_cmp_lt_u64_e32 vcc, s[10:11], v[2:3]
	v_add_u32_e32 v4, 7, v15
	v_cndmask_b32_e32 v6, v14, v4, vcc
	v_cndmask_b32_e64 v4, 0, 1, vcc
	v_lshrrev_b64 v[4:5], v4, v[2:3]
; %bb.14:                               ;   in Loop: Header=BB12_7 Depth=1
	s_andn2_saveexec_b64 s[0:1], s[0:1]
; %bb.15:                               ;   in Loop: Header=BB12_7 Depth=1
	v_mov_b32_e32 v5, v3
	v_bfe_u32 v6, v2, 23, 1
	v_mov_b32_e32 v4, v2
; %bb.16:                               ;   in Loop: Header=BB12_7 Depth=1
	s_or_b64 exec, exec, s[0:1]
	v_lshrrev_b64 v[4:5], 20, v[4:5]
	v_cmp_gt_i32_e32 vcc, 16, v6
	v_cndmask_b32_e32 v5, 0, v5, vcc
	v_cndmask_b32_e32 v4, 7, v4, vcc
	v_cmp_ne_u64_e32 vcc, 0, v[4:5]
	v_cmp_ne_u32_e64 s[0:1], 0, v6
	s_or_b64 s[0:1], s[0:1], vcc
                                        ; implicit-def: $vgpr5
	s_and_saveexec_b64 s[18:19], s[0:1]
	s_xor_b64 s[0:1], exec, s[18:19]
; %bb.17:                               ;   in Loop: Header=BB12_7 Depth=1
	v_min_i32_e32 v2, 15, v6
	v_lshl_or_b32 v2, v2, 3, v12
	v_and_or_b32 v5, v4, 7, v2
                                        ; implicit-def: $vgpr12
; %bb.18:                               ;   in Loop: Header=BB12_7 Depth=1
	s_andn2_saveexec_b64 s[0:1], s[0:1]
; %bb.19:                               ;   in Loop: Header=BB12_7 Depth=1
	v_mov_b32_e32 v5, v12
; %bb.20:                               ;   in Loop: Header=BB12_7 Depth=1
	s_or_b64 exec, exec, s[0:1]
.LBB12_21:                              ;   in Loop: Header=BB12_7 Depth=1
	s_or_b64 exec, exec, s[16:17]
                                        ; implicit-def: $vgpr12
.LBB12_22:                              ;   in Loop: Header=BB12_7 Depth=1
	s_andn2_saveexec_b64 s[0:1], s[14:15]
; %bb.23:                               ;   in Loop: Header=BB12_7 Depth=1
	v_or_b32_e32 v5, 0x7e, v12
; %bb.24:                               ;   in Loop: Header=BB12_7 Depth=1
	s_or_b64 exec, exec, s[0:1]
                                        ; implicit-def: $vgpr4
.LBB12_25:                              ;   in Loop: Header=BB12_7 Depth=1
	s_andn2_saveexec_b64 s[0:1], s[12:13]
; %bb.26:                               ;   in Loop: Header=BB12_7 Depth=1
	v_or_b32_sdwa v5, v4, s46 dst_sel:DWORD dst_unused:UNUSED_PAD src0_sel:BYTE_3 src1_sel:DWORD
; %bb.27:                               ;   in Loop: Header=BB12_7 Depth=1
	s_or_b64 exec, exec, s[0:1]
	v_sub_u32_e32 v2, 0, v0
	v_max_i32_e32 v2, v0, v2
	v_mul_hi_u32 v4, v2, v7
	v_xor_b32_e32 v1, s26, v1
	v_mul_lo_u32 v6, v4, s28
	v_add_u32_e32 v12, 1, v4
	v_sub_u32_e32 v2, v2, v6
	v_cmp_le_u32_e32 vcc, s28, v2
	v_subrev_u32_e32 v6, s28, v2
	v_cndmask_b32_e32 v4, v4, v12, vcc
	v_cndmask_b32_e32 v2, v2, v6, vcc
	v_add_u32_e32 v6, 1, v4
	v_cmp_le_u32_e32 vcc, s28, v2
	v_cndmask_b32_e32 v2, v4, v6, vcc
	v_xor_b32_e32 v2, v2, v1
	v_sub_u32_e32 v4, v2, v1
	v_mad_u64_u32 v[1:2], s[0:1], s43, v4, v[0:1]
	s_waitcnt vmcnt(0)
	v_cvt_f32_f16_e32 v2, v13
	v_mul_lo_u32 v12, v4, s3
	v_ashrrev_i32_e32 v6, 31, v1
	v_mul_lo_u32 v4, s38, v4
	v_div_scale_f32 v15, s[0:1], s41, s41, v2
	v_sub_u32_e32 v13, v6, v12
	v_add_u32_e32 v13, v0, v13
	v_xor_b32_e32 v13, v13, v6
	v_mul_hi_u32 v14, v13, s29
	v_div_scale_f32 v17, vcc, v2, s41, v2
	v_xor_b32_e32 v6, s27, v6
	v_mul_lo_u32 v16, v14, s25
	v_add_u32_e32 v18, 1, v14
	v_sub_u32_e32 v13, v13, v16
	v_cmp_le_u32_e64 s[0:1], s25, v13
	v_subrev_u32_e32 v16, s25, v13
	v_cndmask_b32_e64 v14, v14, v18, s[0:1]
	v_cndmask_b32_e64 v13, v13, v16, s[0:1]
	v_add_u32_e32 v16, 1, v14
	v_cmp_le_u32_e64 s[0:1], s25, v13
	v_cndmask_b32_e64 v13, v14, v16, s[0:1]
	v_rcp_f32_e32 v14, v15
	v_xor_b32_e32 v13, v13, v6
	v_sub_u32_e32 v6, v13, v6
	v_mul_lo_u32 v16, s2, v6
	v_fma_f32 v13, -v15, v14, 1.0
	v_fmac_f32_e32 v14, v13, v14
	v_mul_f32_e32 v13, v17, v14
	v_fma_f32 v18, -v15, v13, v17
	v_fmac_f32_e32 v13, v18, v14
	v_fma_f32 v15, -v15, v13, v17
	v_div_fmas_f32 v15, v15, v14, v13
	v_mad_u64_u32 v[13:14], s[0:1], s21, v6, v[1:2]
	v_ashrrev_i32_e32 v6, 31, v4
	v_mov_b32_e32 v18, s35
	v_add_co_u32_e32 v4, vcc, s34, v4
	v_addc_co_u32_e32 v6, vcc, v18, v6, vcc
	v_ashrrev_i32_e32 v14, 31, v16
	v_add_co_u32_e32 v4, vcc, v4, v16
	v_addc_co_u32_e32 v6, vcc, v6, v14, vcc
	v_mov_b32_e32 v14, s30
	v_ashrrev_i32_e32 v17, 31, v13
	v_div_fixup_f32 v2, v15, s41, v2
	v_cvt_f16_f32_e32 v2, v2
	v_add_co_u32_e32 v15, vcc, s39, v4
	v_addc_co_u32_e32 v6, vcc, v6, v14, vcc
	v_cvt_f32_f16_e32 v4, v2
	v_add_co_u32_e32 v13, vcc, v15, v13
	v_addc_co_u32_e32 v14, vcc, v6, v17, vcc
	v_and_b32_e32 v2, 0x7f800000, v4
	v_cmp_ne_u64_e32 vcc, s[6:7], v[2:3]
	global_store_byte v[13:14], v5, off
                                        ; implicit-def: $vgpr2
	s_and_saveexec_b64 s[0:1], vcc
	s_xor_b64 s[12:13], exec, s[0:1]
	s_cbranch_execz .LBB12_45
; %bb.28:                               ;   in Loop: Header=BB12_7 Depth=1
	v_and_b32_e32 v2, 0x7fffffff, v4
	v_cmp_gt_u64_e32 vcc, s[8:9], v[2:3]
	v_and_b32_sdwa v13, v4, s44 dst_sel:DWORD dst_unused:UNUSED_PAD src0_sel:BYTE_3 src1_sel:DWORD
                                        ; implicit-def: $vgpr2
	s_and_saveexec_b64 s[0:1], vcc
	s_xor_b64 s[14:15], exec, s[0:1]
	s_cbranch_execz .LBB12_42
; %bb.29:                               ;   in Loop: Header=BB12_7 Depth=1
	v_cmp_ne_u32_e32 vcc, 0, v4
	v_mov_b32_e32 v2, 0
	s_and_saveexec_b64 s[16:17], vcc
	s_cbranch_execz .LBB12_41
; %bb.30:                               ;   in Loop: Header=BB12_7 Depth=1
	v_bfe_u32 v14, v4, 23, 8
	v_and_b32_e32 v2, 0x7fffff, v4
	v_sub_u32_e32 v4, 0x79, v14
	v_cmp_gt_u32_e32 vcc, s45, v14
	v_cndmask_b32_e32 v4, 0, v4, vcc
	v_cmp_eq_u32_e32 vcc, 0, v14
	v_cndmask_b32_e32 v15, v4, v10, vcc
	v_add_u32_e32 v4, 20, v15
	v_or_b32_e32 v6, 0x800000, v2
	v_lshlrev_b64 v[4:5], v4, -1
	v_cndmask_b32_e32 v2, v6, v2, vcc
	v_bfi_b32 v16, v4, 0, v2
	v_add_u32_e32 v4, 19, v15
	v_bfi_b32 v17, v5, 0, 0
	v_lshlrev_b64 v[18:19], v4, 1
	v_lshrrev_b64 v[4:5], v15, v[2:3]
	v_cmp_eq_u64_e64 s[0:1], v[16:17], v[18:19]
	v_mov_b32_e32 v6, v5
	v_mov_b32_e32 v5, v4
	s_and_saveexec_b64 s[18:19], s[0:1]
; %bb.31:                               ;   in Loop: Header=BB12_7 Depth=1
	v_bfe_u32 v2, v4, 20, 1
	v_add_co_u32_e64 v2, s[0:1], v4, v2
	v_add_co_u32_e64 v5, s[0:1], -1, v2
; %bb.32:                               ;   in Loop: Header=BB12_7 Depth=1
	s_or_b64 exec, exec, s[18:19]
	v_add_u32_e32 v2, 0xffffff81, v14
	v_cndmask_b32_e32 v2, v2, v11, vcc
	v_lshrrev_b32_e32 v6, 23, v4
	v_add3_u32 v15, v15, v2, v6
	v_add_u32_e32 v14, 6, v15
	v_and_b32_e32 v2, 0xfffff, v5
	v_add_u32_e32 v2, v2, v4
	v_cmp_ne_u32_e32 vcc, 0, v14
                                        ; implicit-def: $vgpr4_vgpr5
                                        ; implicit-def: $vgpr6
	s_and_saveexec_b64 s[0:1], vcc
	s_xor_b64 s[0:1], exec, s[0:1]
; %bb.33:                               ;   in Loop: Header=BB12_7 Depth=1
	v_cmp_lt_u64_e32 vcc, s[10:11], v[2:3]
	v_add_u32_e32 v4, 7, v15
	v_cndmask_b32_e32 v6, v14, v4, vcc
	v_cndmask_b32_e64 v4, 0, 1, vcc
	v_lshrrev_b64 v[4:5], v4, v[2:3]
; %bb.34:                               ;   in Loop: Header=BB12_7 Depth=1
	s_andn2_saveexec_b64 s[0:1], s[0:1]
; %bb.35:                               ;   in Loop: Header=BB12_7 Depth=1
	v_mov_b32_e32 v5, v3
	v_bfe_u32 v6, v2, 23, 1
	v_mov_b32_e32 v4, v2
; %bb.36:                               ;   in Loop: Header=BB12_7 Depth=1
	s_or_b64 exec, exec, s[0:1]
	v_lshrrev_b64 v[4:5], 20, v[4:5]
	v_cmp_gt_i32_e32 vcc, 16, v6
	v_cndmask_b32_e32 v5, 0, v5, vcc
	v_cndmask_b32_e32 v4, 7, v4, vcc
	v_cmp_ne_u64_e32 vcc, 0, v[4:5]
	v_cmp_ne_u32_e64 s[0:1], 0, v6
	s_or_b64 s[0:1], s[0:1], vcc
                                        ; implicit-def: $vgpr2
	s_and_saveexec_b64 s[18:19], s[0:1]
	s_xor_b64 s[0:1], exec, s[18:19]
; %bb.37:                               ;   in Loop: Header=BB12_7 Depth=1
	v_min_i32_e32 v2, 15, v6
	v_lshl_or_b32 v2, v2, 3, v13
	v_and_or_b32 v2, v4, 7, v2
                                        ; implicit-def: $vgpr13
; %bb.38:                               ;   in Loop: Header=BB12_7 Depth=1
	s_andn2_saveexec_b64 s[0:1], s[0:1]
; %bb.39:                               ;   in Loop: Header=BB12_7 Depth=1
	v_mov_b32_e32 v2, v13
; %bb.40:                               ;   in Loop: Header=BB12_7 Depth=1
	s_or_b64 exec, exec, s[0:1]
.LBB12_41:                              ;   in Loop: Header=BB12_7 Depth=1
	s_or_b64 exec, exec, s[16:17]
                                        ; implicit-def: $vgpr13
.LBB12_42:                              ;   in Loop: Header=BB12_7 Depth=1
	s_andn2_saveexec_b64 s[0:1], s[14:15]
; %bb.43:                               ;   in Loop: Header=BB12_7 Depth=1
	v_or_b32_e32 v2, 0x7e, v13
; %bb.44:                               ;   in Loop: Header=BB12_7 Depth=1
	s_or_b64 exec, exec, s[0:1]
                                        ; implicit-def: $vgpr4
.LBB12_45:                              ;   in Loop: Header=BB12_7 Depth=1
	s_andn2_saveexec_b64 s[0:1], s[12:13]
	s_cbranch_execz .LBB12_6
; %bb.46:                               ;   in Loop: Header=BB12_7 Depth=1
	v_or_b32_sdwa v2, v4, s46 dst_sel:DWORD dst_unused:UNUSED_PAD src0_sel:BYTE_3 src1_sel:DWORD
	s_branch .LBB12_6
.LBB12_47:
	s_endpgm
.LBB12_48:
                                        ; implicit-def: $sgpr22_sgpr23
	s_branch .LBB12_3
	.section	.rodata,"a",@progbits
	.p2align	6, 0x0
	.amdhsa_kernel _ZN4vllm24reshape_and_cache_kernelIthLNS_18Fp8KVCacheDataTypeE1EEEvPKT_S4_PT0_S6_PKliiiiiiPKfSA_
		.amdhsa_group_segment_fixed_size 0
		.amdhsa_private_segment_fixed_size 0
		.amdhsa_kernarg_size 336
		.amdhsa_user_sgpr_count 6
		.amdhsa_user_sgpr_private_segment_buffer 1
		.amdhsa_user_sgpr_dispatch_ptr 0
		.amdhsa_user_sgpr_queue_ptr 0
		.amdhsa_user_sgpr_kernarg_segment_ptr 1
		.amdhsa_user_sgpr_dispatch_id 0
		.amdhsa_user_sgpr_flat_scratch_init 0
		.amdhsa_user_sgpr_private_segment_size 0
		.amdhsa_uses_dynamic_stack 0
		.amdhsa_system_sgpr_private_segment_wavefront_offset 0
		.amdhsa_system_sgpr_workgroup_id_x 1
		.amdhsa_system_sgpr_workgroup_id_y 0
		.amdhsa_system_sgpr_workgroup_id_z 0
		.amdhsa_system_sgpr_workgroup_info 0
		.amdhsa_system_vgpr_workitem_id 0
		.amdhsa_next_free_vgpr 20
		.amdhsa_next_free_sgpr 47
		.amdhsa_reserve_vcc 1
		.amdhsa_reserve_flat_scratch 0
		.amdhsa_float_round_mode_32 0
		.amdhsa_float_round_mode_16_64 0
		.amdhsa_float_denorm_mode_32 3
		.amdhsa_float_denorm_mode_16_64 3
		.amdhsa_dx10_clamp 1
		.amdhsa_ieee_mode 1
		.amdhsa_fp16_overflow 0
		.amdhsa_exception_fp_ieee_invalid_op 0
		.amdhsa_exception_fp_denorm_src 0
		.amdhsa_exception_fp_ieee_div_zero 0
		.amdhsa_exception_fp_ieee_overflow 0
		.amdhsa_exception_fp_ieee_underflow 0
		.amdhsa_exception_fp_ieee_inexact 0
		.amdhsa_exception_int_div_zero 0
	.end_amdhsa_kernel
	.section	.text._ZN4vllm24reshape_and_cache_kernelIthLNS_18Fp8KVCacheDataTypeE1EEEvPKT_S4_PT0_S6_PKliiiiiiPKfSA_,"axG",@progbits,_ZN4vllm24reshape_and_cache_kernelIthLNS_18Fp8KVCacheDataTypeE1EEEvPKT_S4_PT0_S6_PKliiiiiiPKfSA_,comdat
.Lfunc_end12:
	.size	_ZN4vllm24reshape_and_cache_kernelIthLNS_18Fp8KVCacheDataTypeE1EEEvPKT_S4_PT0_S6_PKliiiiiiPKfSA_, .Lfunc_end12-_ZN4vllm24reshape_and_cache_kernelIthLNS_18Fp8KVCacheDataTypeE1EEEvPKT_S4_PT0_S6_PKliiiiiiPKfSA_
                                        ; -- End function
	.set _ZN4vllm24reshape_and_cache_kernelIthLNS_18Fp8KVCacheDataTypeE1EEEvPKT_S4_PT0_S6_PKliiiiiiPKfSA_.num_vgpr, 20
	.set _ZN4vllm24reshape_and_cache_kernelIthLNS_18Fp8KVCacheDataTypeE1EEEvPKT_S4_PT0_S6_PKliiiiiiPKfSA_.num_agpr, 0
	.set _ZN4vllm24reshape_and_cache_kernelIthLNS_18Fp8KVCacheDataTypeE1EEEvPKT_S4_PT0_S6_PKliiiiiiPKfSA_.numbered_sgpr, 47
	.set _ZN4vllm24reshape_and_cache_kernelIthLNS_18Fp8KVCacheDataTypeE1EEEvPKT_S4_PT0_S6_PKliiiiiiPKfSA_.num_named_barrier, 0
	.set _ZN4vllm24reshape_and_cache_kernelIthLNS_18Fp8KVCacheDataTypeE1EEEvPKT_S4_PT0_S6_PKliiiiiiPKfSA_.private_seg_size, 0
	.set _ZN4vllm24reshape_and_cache_kernelIthLNS_18Fp8KVCacheDataTypeE1EEEvPKT_S4_PT0_S6_PKliiiiiiPKfSA_.uses_vcc, 1
	.set _ZN4vllm24reshape_and_cache_kernelIthLNS_18Fp8KVCacheDataTypeE1EEEvPKT_S4_PT0_S6_PKliiiiiiPKfSA_.uses_flat_scratch, 0
	.set _ZN4vllm24reshape_and_cache_kernelIthLNS_18Fp8KVCacheDataTypeE1EEEvPKT_S4_PT0_S6_PKliiiiiiPKfSA_.has_dyn_sized_stack, 0
	.set _ZN4vllm24reshape_and_cache_kernelIthLNS_18Fp8KVCacheDataTypeE1EEEvPKT_S4_PT0_S6_PKliiiiiiPKfSA_.has_recursion, 0
	.set _ZN4vllm24reshape_and_cache_kernelIthLNS_18Fp8KVCacheDataTypeE1EEEvPKT_S4_PT0_S6_PKliiiiiiPKfSA_.has_indirect_call, 0
	.section	.AMDGPU.csdata,"",@progbits
; Kernel info:
; codeLenInByte = 2756
; TotalNumSgprs: 51
; NumVgprs: 20
; ScratchSize: 0
; MemoryBound: 0
; FloatMode: 240
; IeeeMode: 1
; LDSByteSize: 0 bytes/workgroup (compile time only)
; SGPRBlocks: 6
; VGPRBlocks: 4
; NumSGPRsForWavesPerEU: 51
; NumVGPRsForWavesPerEU: 20
; Occupancy: 10
; WaveLimiterHint : 1
; COMPUTE_PGM_RSRC2:SCRATCH_EN: 0
; COMPUTE_PGM_RSRC2:USER_SGPR: 6
; COMPUTE_PGM_RSRC2:TRAP_HANDLER: 0
; COMPUTE_PGM_RSRC2:TGID_X_EN: 1
; COMPUTE_PGM_RSRC2:TGID_Y_EN: 0
; COMPUTE_PGM_RSRC2:TGID_Z_EN: 0
; COMPUTE_PGM_RSRC2:TIDIG_COMP_CNT: 0
	.section	.text._ZN4vllm24reshape_and_cache_kernelI14__hip_bfloat16hLNS_18Fp8KVCacheDataTypeE1EEEvPKT_S5_PT0_S7_PKliiiiiiPKfSB_,"axG",@progbits,_ZN4vllm24reshape_and_cache_kernelI14__hip_bfloat16hLNS_18Fp8KVCacheDataTypeE1EEEvPKT_S5_PT0_S7_PKliiiiiiPKfSB_,comdat
	.protected	_ZN4vllm24reshape_and_cache_kernelI14__hip_bfloat16hLNS_18Fp8KVCacheDataTypeE1EEEvPKT_S5_PT0_S7_PKliiiiiiPKfSB_ ; -- Begin function _ZN4vllm24reshape_and_cache_kernelI14__hip_bfloat16hLNS_18Fp8KVCacheDataTypeE1EEEvPKT_S5_PT0_S7_PKliiiiiiPKfSB_
	.globl	_ZN4vllm24reshape_and_cache_kernelI14__hip_bfloat16hLNS_18Fp8KVCacheDataTypeE1EEEvPKT_S5_PT0_S7_PKliiiiiiPKfSB_
	.p2align	8
	.type	_ZN4vllm24reshape_and_cache_kernelI14__hip_bfloat16hLNS_18Fp8KVCacheDataTypeE1EEEvPKT_S5_PT0_S7_PKliiiiiiPKfSB_,@function
_ZN4vllm24reshape_and_cache_kernelI14__hip_bfloat16hLNS_18Fp8KVCacheDataTypeE1EEEvPKT_S5_PT0_S7_PKliiiiiiPKfSB_: ; @_ZN4vllm24reshape_and_cache_kernelI14__hip_bfloat16hLNS_18Fp8KVCacheDataTypeE1EEEvPKT_S5_PT0_S7_PKliiiiiiPKfSB_
; %bb.0:
	s_load_dwordx2 s[0:1], s[4:5], 0x20
	s_mov_b32 s7, 0
	s_lshl_b64 s[2:3], s[6:7], 3
	s_waitcnt lgkmcnt(0)
	s_add_u32 s0, s0, s2
	s_addc_u32 s1, s1, s3
	s_load_dwordx2 s[16:17], s[0:1], 0x0
	s_waitcnt lgkmcnt(0)
	v_cmp_lt_i64_e64 s[0:1], s[16:17], 0
	s_and_b64 vcc, exec, s[0:1]
	s_cbranch_vccnz .LBB13_47
; %bb.1:
	s_load_dwordx2 s[20:21], s[4:5], 0x38
	s_load_dwordx4 s[0:3], s[4:5], 0x28
	s_waitcnt lgkmcnt(0)
	s_ashr_i32 s19, s20, 31
	s_mov_b32 s18, s20
	s_or_b64 s[8:9], s[16:17], s[18:19]
	s_mov_b32 s8, s7
	s_cmp_lg_u64 s[8:9], 0
	s_cbranch_scc0 .LBB13_48
; %bb.2:
	s_ashr_i32 s8, s19, 31
	s_add_u32 s10, s18, s8
	s_mov_b32 s9, s8
	s_addc_u32 s11, s19, s8
	s_xor_b64 s[12:13], s[10:11], s[8:9]
	v_cvt_f32_u32_e32 v1, s12
	v_cvt_f32_u32_e32 v2, s13
	s_sub_u32 s7, 0, s12
	s_subb_u32 s22, 0, s13
	v_madmk_f32 v1, v2, 0x4f800000, v1
	v_rcp_f32_e32 v1, v1
	v_mul_f32_e32 v1, 0x5f7ffffc, v1
	v_mul_f32_e32 v2, 0x2f800000, v1
	v_trunc_f32_e32 v2, v2
	v_madmk_f32 v1, v2, 0xcf800000, v1
	v_cvt_u32_f32_e32 v2, v2
	v_cvt_u32_f32_e32 v1, v1
	v_readfirstlane_b32 s23, v2
	v_readfirstlane_b32 s14, v1
	s_mul_i32 s15, s7, s23
	s_mul_hi_u32 s25, s7, s14
	s_mul_i32 s24, s22, s14
	s_add_i32 s15, s25, s15
	s_add_i32 s15, s15, s24
	s_mul_i32 s26, s7, s14
	s_mul_i32 s25, s14, s15
	s_mul_hi_u32 s27, s14, s26
	s_mul_hi_u32 s24, s14, s15
	s_add_u32 s25, s27, s25
	s_addc_u32 s24, 0, s24
	s_mul_hi_u32 s28, s23, s26
	s_mul_i32 s26, s23, s26
	s_add_u32 s25, s25, s26
	s_mul_hi_u32 s27, s23, s15
	s_addc_u32 s24, s24, s28
	s_addc_u32 s25, s27, 0
	s_mul_i32 s15, s23, s15
	s_add_u32 s15, s24, s15
	s_addc_u32 s24, 0, s25
	s_add_u32 s25, s14, s15
	s_cselect_b64 s[14:15], -1, 0
	s_cmp_lg_u64 s[14:15], 0
	s_addc_u32 s23, s23, s24
	s_mul_i32 s14, s7, s23
	s_mul_hi_u32 s15, s7, s25
	s_add_i32 s14, s15, s14
	s_mul_i32 s22, s22, s25
	s_add_i32 s14, s14, s22
	s_mul_i32 s7, s7, s25
	s_mul_hi_u32 s22, s23, s7
	s_mul_i32 s24, s23, s7
	s_mul_i32 s27, s25, s14
	s_mul_hi_u32 s7, s25, s7
	s_mul_hi_u32 s26, s25, s14
	s_add_u32 s7, s7, s27
	s_addc_u32 s26, 0, s26
	s_add_u32 s7, s7, s24
	s_mul_hi_u32 s15, s23, s14
	s_addc_u32 s7, s26, s22
	s_addc_u32 s15, s15, 0
	s_mul_i32 s14, s23, s14
	s_add_u32 s7, s7, s14
	s_addc_u32 s22, 0, s15
	s_add_u32 s7, s25, s7
	s_cselect_b64 s[14:15], -1, 0
	s_cmp_lg_u64 s[14:15], 0
	s_addc_u32 s24, s23, s22
	s_ashr_i32 s14, s17, 31
	s_add_u32 s22, s16, s14
	s_mov_b32 s15, s14
	s_addc_u32 s23, s17, s14
	s_xor_b64 s[22:23], s[22:23], s[14:15]
	s_mul_i32 s26, s22, s24
	s_mul_hi_u32 s27, s22, s7
	s_mul_hi_u32 s25, s22, s24
	s_add_u32 s26, s27, s26
	s_addc_u32 s25, 0, s25
	s_mul_hi_u32 s28, s23, s7
	s_mul_i32 s7, s23, s7
	s_add_u32 s7, s26, s7
	s_mul_hi_u32 s27, s23, s24
	s_addc_u32 s7, s25, s28
	s_addc_u32 s25, s27, 0
	s_mul_i32 s24, s23, s24
	s_add_u32 s7, s7, s24
	s_addc_u32 s28, 0, s25
	s_mul_i32 s24, s12, s28
	s_mul_hi_u32 s25, s12, s7
	s_add_i32 s24, s25, s24
	s_mul_i32 s25, s13, s7
	s_add_i32 s29, s24, s25
	s_sub_i32 s26, s23, s29
	s_mul_i32 s24, s12, s7
	s_sub_u32 s22, s22, s24
	s_cselect_b64 s[24:25], -1, 0
	s_cmp_lg_u64 s[24:25], 0
	s_subb_u32 s30, s26, s13
	s_sub_u32 s31, s22, s12
	s_cselect_b64 s[26:27], -1, 0
	s_cmp_lg_u64 s[26:27], 0
	s_subb_u32 s26, s30, 0
	s_cmp_ge_u32 s26, s13
	s_cselect_b32 s27, -1, 0
	s_cmp_ge_u32 s31, s12
	s_cselect_b32 s30, -1, 0
	s_cmp_eq_u32 s26, s13
	s_cselect_b32 s26, s30, s27
	s_add_u32 s27, s7, 1
	s_addc_u32 s30, s28, 0
	s_add_u32 s31, s7, 2
	s_addc_u32 s33, s28, 0
	s_cmp_lg_u32 s26, 0
	s_cselect_b32 s26, s31, s27
	s_cselect_b32 s27, s33, s30
	s_cmp_lg_u64 s[24:25], 0
	s_subb_u32 s23, s23, s29
	s_cmp_ge_u32 s23, s13
	s_cselect_b32 s24, -1, 0
	s_cmp_ge_u32 s22, s12
	s_cselect_b32 s12, -1, 0
	s_cmp_eq_u32 s23, s13
	s_cselect_b32 s12, s12, s24
	s_cmp_lg_u32 s12, 0
	s_cselect_b32 s13, s27, s28
	s_cselect_b32 s12, s26, s7
	s_xor_b64 s[8:9], s[14:15], s[8:9]
	s_xor_b64 s[12:13], s[12:13], s[8:9]
	s_sub_u32 s22, s12, s8
	s_subb_u32 s23, s13, s9
	s_cbranch_execnz .LBB13_4
.LBB13_3:
	v_cvt_f32_u32_e32 v1, s18
	s_sub_i32 s7, 0, s18
	s_mov_b32 s23, 0
	v_rcp_iflag_f32_e32 v1, v1
	v_mul_f32_e32 v1, 0x4f7ffffe, v1
	v_cvt_u32_f32_e32 v1, v1
	v_readfirstlane_b32 s8, v1
	s_mul_i32 s7, s7, s8
	s_mul_hi_u32 s7, s8, s7
	s_add_i32 s8, s8, s7
	s_mul_hi_u32 s7, s16, s8
	s_mul_i32 s9, s7, s18
	s_sub_i32 s9, s16, s9
	s_add_i32 s8, s7, 1
	s_sub_i32 s10, s9, s18
	s_cmp_ge_u32 s9, s18
	s_cselect_b32 s7, s8, s7
	s_cselect_b32 s9, s10, s9
	s_add_i32 s8, s7, 1
	s_cmp_ge_u32 s9, s18
	s_cselect_b32 s22, s8, s7
.LBB13_4:
	s_mul_i32 s24, s3, s2
	v_cmp_gt_i32_e32 vcc, s24, v0
	s_and_saveexec_b64 s[8:9], vcc
	s_cbranch_execz .LBB13_47
; %bb.5:
	s_mul_i32 s7, s22, s19
	s_mul_hi_u32 s19, s22, s18
	s_add_i32 s7, s19, s7
	s_mul_i32 s19, s23, s18
	s_add_i32 s30, s7, s19
	s_mul_i32 s31, s22, s18
	s_sub_u32 s22, s16, s31
	s_subb_u32 s23, s17, s30
	s_ashr_i32 s7, s0, 31
	s_mul_hi_u32 s25, s0, s6
	s_mul_i32 s7, s7, s6
	s_add_i32 s35, s25, s7
	s_abs_i32 s25, s21
	v_cvt_f32_u32_e32 v1, s25
	s_sub_i32 s29, 0, s25
	s_abs_i32 s28, s3
	s_mul_i32 s34, s0, s6
	v_rcp_iflag_f32_e32 v1, v1
	s_ashr_i32 s0, s1, 31
	s_mul_hi_u32 s7, s1, s6
	s_mul_i32 s0, s0, s6
	v_mul_f32_e32 v1, 0x4f7ffffe, v1
	v_cvt_u32_f32_e32 v1, v1
	s_ashr_i32 s26, s3, 31
	s_ashr_i32 s27, s21, 31
	s_add_i32 s7, s7, s0
	v_readfirstlane_b32 s33, v1
	s_mul_i32 s29, s29, s33
	s_mul_hi_u32 s29, s33, s29
	s_add_i32 s29, s33, s29
	s_mul_hi_u32 s33, s28, s29
	s_mul_i32 s36, s33, s25
	s_sub_i32 s36, s28, s36
	s_mul_i32 s6, s1, s6
	s_ashr_i32 s0, s2, 31
	s_xor_b32 s1, s26, s27
	s_add_i32 s37, s33, 1
	s_sub_i32 s38, s36, s25
	s_cmp_ge_u32 s36, s25
	s_cselect_b32 s33, s37, s33
	s_cselect_b32 s36, s38, s36
	s_add_i32 s37, s33, 1
	s_cmp_ge_u32 s36, s25
	s_cselect_b32 s33, s37, s33
	s_xor_b32 s33, s33, s1
	s_sub_i32 s38, s33, s1
	s_mul_i32 s0, s31, s0
	s_mul_hi_u32 s33, s31, s2
	s_mul_i32 s30, s30, s2
	s_add_i32 s0, s33, s0
	s_mul_i32 s31, s31, s2
	s_add_i32 s0, s0, s30
	s_mul_i32 s30, s31, s27
	s_mul_hi_u32 s33, s31, s21
	s_mul_i32 s2, s0, s21
	s_add_i32 s30, s33, s30
	s_ashr_i32 s1, s38, 31
	s_add_i32 s2, s30, s2
	s_mul_i32 s30, s31, s21
	s_mul_i32 s1, s30, s1
	s_mul_hi_u32 s33, s30, s38
	s_add_i32 s1, s33, s1
	s_mul_i32 s2, s2, s38
	s_load_dwordx8 s[8:15], s[4:5], 0x0
	s_add_i32 s36, s1, s2
	s_mul_i32 s37, s30, s38
	s_mul_i32 s1, s22, s27
	s_mul_hi_u32 s30, s22, s21
	v_cvt_f32_u32_e32 v1, s28
	s_add_i32 s1, s30, s1
	s_mul_i32 s30, s23, s21
	s_add_i32 s30, s1, s30
	s_mul_i32 s1, s31, s26
	s_mul_hi_u32 s33, s31, s3
	s_mul_i32 s0, s0, s3
	s_add_i32 s1, s33, s1
	s_add_i32 s39, s1, s0
	s_lshl_b64 s[0:1], s[34:35], 1
	v_rcp_iflag_f32_e32 v1, v1
	s_mul_i32 s40, s31, s3
	s_waitcnt lgkmcnt(0)
	s_add_u32 s31, s8, s0
	s_addc_u32 s8, s9, s1
	s_lshl_b64 s[0:1], s[6:7], 1
	s_add_u32 s33, s10, s0
	s_addc_u32 s0, s11, s1
	v_mul_f32_e32 v1, 0x4f7ffffe, v1
	s_add_u32 s34, s12, s37
	v_cvt_u32_f32_e32 v1, v1
	s_addc_u32 s35, s13, s36
	s_add_u32 s36, s14, s40
	s_load_dwordx4 s[16:19], s[4:5], 0x40
	s_addc_u32 s37, s15, s39
	s_sub_i32 s1, 0, s28
	v_mul_lo_u32 v2, s1, v1
	s_load_dword s1, s[4:5], 0x5c
	s_waitcnt lgkmcnt(0)
	s_load_dword s40, s[16:17], 0x0
	s_load_dword s41, s[18:19], 0x0
	s_mul_i32 s2, s21, s20
	v_mul_hi_u32 v2, v1, v2
	s_mul_i32 s38, s2, s38
	s_mul_i32 s39, s22, s21
	s_and_b32 s42, s1, 0xffff
	v_add_u32_e32 v7, v1, v2
	v_mov_b32_e32 v3, 0
	s_sub_i32 s43, 0, s3
	s_sub_i32 s21, 0, s21
	s_mov_b64 s[4:5], 0
	v_mov_b32_e32 v8, s8
	v_mov_b32_e32 v9, s0
	s_mov_b64 s[6:7], 0x7f800000
	s_movk_i32 s44, 0x80
	s_mov_b64 s[8:9], 0x43e00001
	s_movk_i32 s45, 0x7a
	s_mov_b64 s[10:11], 0xffffff
	s_movk_i32 s46, 0x7f
	v_mov_b32_e32 v10, 0x78
	v_mov_b32_e32 v11, 0xffffff82
	s_branch .LBB13_7
.LBB13_6:                               ;   in Loop: Header=BB13_7 Depth=1
	s_or_b64 exec, exec, s[0:1]
	v_mul_lo_u32 v4, v12, s20
	v_mul_lo_u32 v1, v1, s20
	v_mov_b32_e32 v5, s37
	v_add_u32_e32 v0, s42, v0
	v_ashrrev_i32_e32 v6, 31, v4
	v_add_co_u32_e32 v4, vcc, s36, v4
	v_addc_co_u32_e32 v5, vcc, v5, v6, vcc
	v_ashrrev_i32_e32 v12, 31, v1
	v_add_co_u32_e32 v1, vcc, v4, v1
	v_addc_co_u32_e32 v5, vcc, v5, v12, vcc
	v_mov_b32_e32 v6, s23
	v_add_co_u32_e32 v4, vcc, s22, v1
	v_addc_co_u32_e32 v5, vcc, v5, v6, vcc
	v_cmp_le_i32_e32 vcc, s24, v0
	s_or_b64 s[4:5], vcc, s[4:5]
	global_store_byte v[4:5], v2, off
	s_andn2_b64 exec, exec, s[4:5]
	s_cbranch_execz .LBB13_47
.LBB13_7:                               ; =>This Inner Loop Header: Depth=1
	v_ashrrev_i32_e32 v1, 31, v0
	v_lshlrev_b64 v[4:5], 1, v[0:1]
	v_add_co_u32_e32 v12, vcc, s31, v4
	v_addc_co_u32_e32 v13, vcc, v8, v5, vcc
	global_load_ushort v2, v[12:13], off
	v_add_co_u32_e32 v4, vcc, s33, v4
	v_addc_co_u32_e32 v5, vcc, v9, v5, vcc
	global_load_ushort v13, v[4:5], off
	s_waitcnt vmcnt(1)
	v_lshlrev_b32_e32 v2, 16, v2
	s_waitcnt lgkmcnt(0)
	v_div_scale_f32 v4, s[0:1], s40, s40, v2
	v_div_scale_f32 v5, vcc, v2, s40, v2
	v_rcp_f32_e32 v6, v4
	v_fma_f32 v12, -v4, v6, 1.0
	v_fmac_f32_e32 v6, v12, v6
	v_mul_f32_e32 v12, v5, v6
	v_fma_f32 v14, -v4, v12, v5
	v_fmac_f32_e32 v12, v14, v6
	v_fma_f32 v4, -v4, v12, v5
	v_div_fmas_f32 v4, v4, v6, v12
                                        ; implicit-def: $vgpr5
	v_div_fixup_f32 v4, v4, s40, v2
	v_and_b32_e32 v2, 0x7f800000, v4
	v_cmp_ne_u64_e32 vcc, s[6:7], v[2:3]
	s_and_saveexec_b64 s[0:1], vcc
	s_xor_b64 s[12:13], exec, s[0:1]
	s_cbranch_execz .LBB13_25
; %bb.8:                                ;   in Loop: Header=BB13_7 Depth=1
	v_and_b32_e32 v2, 0x7fffffff, v4
	v_cmp_gt_u64_e32 vcc, s[8:9], v[2:3]
	v_and_b32_sdwa v12, v4, s44 dst_sel:DWORD dst_unused:UNUSED_PAD src0_sel:BYTE_3 src1_sel:DWORD
                                        ; implicit-def: $vgpr5
	s_and_saveexec_b64 s[0:1], vcc
	s_xor_b64 s[14:15], exec, s[0:1]
	s_cbranch_execz .LBB13_22
; %bb.9:                                ;   in Loop: Header=BB13_7 Depth=1
	v_cmp_ne_u32_e32 vcc, 0, v4
	v_mov_b32_e32 v5, 0
	s_and_saveexec_b64 s[16:17], vcc
	s_cbranch_execz .LBB13_21
; %bb.10:                               ;   in Loop: Header=BB13_7 Depth=1
	v_bfe_u32 v14, v4, 23, 8
	v_and_b32_e32 v2, 0x7fffff, v4
	v_sub_u32_e32 v4, 0x79, v14
	v_cmp_gt_u32_e32 vcc, s45, v14
	v_cndmask_b32_e32 v4, 0, v4, vcc
	v_cmp_eq_u32_e32 vcc, 0, v14
	v_cndmask_b32_e32 v15, v4, v10, vcc
	v_add_u32_e32 v4, 20, v15
	v_or_b32_e32 v6, 0x800000, v2
	v_lshlrev_b64 v[4:5], v4, -1
	v_cndmask_b32_e32 v2, v6, v2, vcc
	v_bfi_b32 v16, v4, 0, v2
	v_add_u32_e32 v4, 19, v15
	v_bfi_b32 v17, v5, 0, 0
	v_lshlrev_b64 v[18:19], v4, 1
	v_lshrrev_b64 v[4:5], v15, v[2:3]
	v_cmp_eq_u64_e64 s[0:1], v[16:17], v[18:19]
	v_mov_b32_e32 v6, v5
	v_mov_b32_e32 v5, v4
	s_and_saveexec_b64 s[18:19], s[0:1]
; %bb.11:                               ;   in Loop: Header=BB13_7 Depth=1
	v_bfe_u32 v2, v4, 20, 1
	v_add_co_u32_e64 v2, s[0:1], v4, v2
	v_add_co_u32_e64 v5, s[0:1], -1, v2
; %bb.12:                               ;   in Loop: Header=BB13_7 Depth=1
	s_or_b64 exec, exec, s[18:19]
	v_add_u32_e32 v2, 0xffffff81, v14
	v_cndmask_b32_e32 v2, v2, v11, vcc
	v_lshrrev_b32_e32 v6, 23, v4
	v_add3_u32 v15, v15, v2, v6
	v_add_u32_e32 v14, 6, v15
	v_and_b32_e32 v2, 0xfffff, v5
	v_add_u32_e32 v2, v2, v4
	v_cmp_ne_u32_e32 vcc, 0, v14
                                        ; implicit-def: $vgpr4_vgpr5
                                        ; implicit-def: $vgpr6
	s_and_saveexec_b64 s[0:1], vcc
	s_xor_b64 s[0:1], exec, s[0:1]
; %bb.13:                               ;   in Loop: Header=BB13_7 Depth=1
	v_cmp_lt_u64_e32 vcc, s[10:11], v[2:3]
	v_add_u32_e32 v4, 7, v15
	v_cndmask_b32_e32 v6, v14, v4, vcc
	v_cndmask_b32_e64 v4, 0, 1, vcc
	v_lshrrev_b64 v[4:5], v4, v[2:3]
; %bb.14:                               ;   in Loop: Header=BB13_7 Depth=1
	s_andn2_saveexec_b64 s[0:1], s[0:1]
; %bb.15:                               ;   in Loop: Header=BB13_7 Depth=1
	v_mov_b32_e32 v5, v3
	v_bfe_u32 v6, v2, 23, 1
	v_mov_b32_e32 v4, v2
; %bb.16:                               ;   in Loop: Header=BB13_7 Depth=1
	s_or_b64 exec, exec, s[0:1]
	v_lshrrev_b64 v[4:5], 20, v[4:5]
	v_cmp_gt_i32_e32 vcc, 16, v6
	v_cndmask_b32_e32 v5, 0, v5, vcc
	v_cndmask_b32_e32 v4, 7, v4, vcc
	v_cmp_ne_u64_e32 vcc, 0, v[4:5]
	v_cmp_ne_u32_e64 s[0:1], 0, v6
	s_or_b64 s[0:1], s[0:1], vcc
                                        ; implicit-def: $vgpr5
	s_and_saveexec_b64 s[18:19], s[0:1]
	s_xor_b64 s[0:1], exec, s[18:19]
; %bb.17:                               ;   in Loop: Header=BB13_7 Depth=1
	v_min_i32_e32 v2, 15, v6
	v_lshl_or_b32 v2, v2, 3, v12
	v_and_or_b32 v5, v4, 7, v2
                                        ; implicit-def: $vgpr12
; %bb.18:                               ;   in Loop: Header=BB13_7 Depth=1
	s_andn2_saveexec_b64 s[0:1], s[0:1]
; %bb.19:                               ;   in Loop: Header=BB13_7 Depth=1
	v_mov_b32_e32 v5, v12
; %bb.20:                               ;   in Loop: Header=BB13_7 Depth=1
	s_or_b64 exec, exec, s[0:1]
.LBB13_21:                              ;   in Loop: Header=BB13_7 Depth=1
	s_or_b64 exec, exec, s[16:17]
                                        ; implicit-def: $vgpr12
.LBB13_22:                              ;   in Loop: Header=BB13_7 Depth=1
	s_andn2_saveexec_b64 s[0:1], s[14:15]
; %bb.23:                               ;   in Loop: Header=BB13_7 Depth=1
	v_or_b32_e32 v5, 0x7e, v12
; %bb.24:                               ;   in Loop: Header=BB13_7 Depth=1
	s_or_b64 exec, exec, s[0:1]
                                        ; implicit-def: $vgpr4
.LBB13_25:                              ;   in Loop: Header=BB13_7 Depth=1
	s_andn2_saveexec_b64 s[0:1], s[12:13]
; %bb.26:                               ;   in Loop: Header=BB13_7 Depth=1
	v_or_b32_sdwa v5, v4, s46 dst_sel:DWORD dst_unused:UNUSED_PAD src0_sel:BYTE_3 src1_sel:DWORD
; %bb.27:                               ;   in Loop: Header=BB13_7 Depth=1
	s_or_b64 exec, exec, s[0:1]
	v_sub_u32_e32 v2, 0, v0
	v_max_i32_e32 v2, v0, v2
	v_mul_hi_u32 v4, v2, v7
	v_xor_b32_e32 v1, s26, v1
	s_waitcnt vmcnt(0)
	v_lshlrev_b32_e32 v15, 16, v13
	v_div_scale_f32 v16, s[0:1], s41, s41, v15
	v_mul_lo_u32 v6, v4, s28
	v_add_u32_e32 v12, 1, v4
	v_sub_u32_e32 v2, v2, v6
	v_cmp_le_u32_e32 vcc, s28, v2
	v_subrev_u32_e32 v6, s28, v2
	v_cndmask_b32_e32 v4, v4, v12, vcc
	v_cndmask_b32_e32 v2, v2, v6, vcc
	v_add_u32_e32 v6, 1, v4
	v_cmp_le_u32_e32 vcc, s28, v2
	v_cndmask_b32_e32 v2, v4, v6, vcc
	v_xor_b32_e32 v2, v2, v1
	v_sub_u32_e32 v4, v2, v1
	v_mad_u64_u32 v[1:2], s[0:1], s43, v4, v[0:1]
	v_mul_lo_u32 v12, v4, s3
	v_mul_lo_u32 v4, s38, v4
	v_ashrrev_i32_e32 v2, 31, v1
	v_sub_u32_e32 v6, v2, v12
	v_add_u32_e32 v6, v0, v6
	v_xor_b32_e32 v6, v6, v2
	v_mul_hi_u32 v14, v6, s29
	v_xor_b32_e32 v2, s27, v2
	v_mul_lo_u32 v13, v14, s25
	v_add_u32_e32 v17, 1, v14
	v_sub_u32_e32 v6, v6, v13
	v_cmp_le_u32_e32 vcc, s25, v6
	v_cndmask_b32_e32 v13, v14, v17, vcc
	v_div_scale_f32 v17, s[0:1], v15, s41, v15
	v_subrev_u32_e32 v14, s25, v6
	v_cndmask_b32_e32 v6, v6, v14, vcc
	v_add_u32_e32 v14, 1, v13
	v_cmp_le_u32_e32 vcc, s25, v6
	v_cndmask_b32_e32 v6, v13, v14, vcc
	v_xor_b32_e32 v6, v6, v2
	v_sub_u32_e32 v2, v6, v2
	v_rcp_f32_e32 v6, v16
	s_mov_b64 vcc, s[0:1]
	v_mad_u64_u32 v[13:14], s[12:13], s21, v2, v[1:2]
	v_fma_f32 v18, -v16, v6, 1.0
	v_fmac_f32_e32 v6, v18, v6
	v_mul_lo_u32 v2, s2, v2
	v_mul_f32_e32 v18, v17, v6
	v_fma_f32 v19, -v16, v18, v17
	v_fmac_f32_e32 v18, v19, v6
	v_fma_f32 v16, -v16, v18, v17
	v_div_fmas_f32 v6, v16, v6, v18
	v_ashrrev_i32_e32 v14, 31, v4
	v_mov_b32_e32 v16, s35
	v_add_co_u32_e32 v4, vcc, s34, v4
	v_addc_co_u32_e32 v14, vcc, v16, v14, vcc
	v_ashrrev_i32_e32 v19, 31, v2
	v_add_co_u32_e32 v2, vcc, v4, v2
	v_addc_co_u32_e32 v4, vcc, v14, v19, vcc
	v_mov_b32_e32 v14, s30
	v_add_co_u32_e32 v2, vcc, s39, v2
	v_addc_co_u32_e32 v4, vcc, v4, v14, vcc
	v_ashrrev_i32_e32 v17, 31, v13
	v_add_co_u32_e32 v13, vcc, v2, v13
	v_addc_co_u32_e32 v14, vcc, v4, v17, vcc
	v_div_fixup_f32 v4, v6, s41, v15
	v_and_b32_e32 v2, 0x7f800000, v4
	v_cmp_ne_u64_e32 vcc, s[6:7], v[2:3]
	global_store_byte v[13:14], v5, off
                                        ; implicit-def: $vgpr2
	s_and_saveexec_b64 s[0:1], vcc
	s_xor_b64 s[12:13], exec, s[0:1]
	s_cbranch_execz .LBB13_45
; %bb.28:                               ;   in Loop: Header=BB13_7 Depth=1
	v_and_b32_e32 v2, 0x7fffffff, v4
	v_cmp_gt_u64_e32 vcc, s[8:9], v[2:3]
	v_and_b32_sdwa v13, v4, s44 dst_sel:DWORD dst_unused:UNUSED_PAD src0_sel:BYTE_3 src1_sel:DWORD
                                        ; implicit-def: $vgpr2
	s_and_saveexec_b64 s[0:1], vcc
	s_xor_b64 s[14:15], exec, s[0:1]
	s_cbranch_execz .LBB13_42
; %bb.29:                               ;   in Loop: Header=BB13_7 Depth=1
	v_cmp_ne_u32_e32 vcc, 0, v4
	v_mov_b32_e32 v2, 0
	s_and_saveexec_b64 s[16:17], vcc
	s_cbranch_execz .LBB13_41
; %bb.30:                               ;   in Loop: Header=BB13_7 Depth=1
	v_bfe_u32 v14, v4, 23, 8
	v_and_b32_e32 v2, 0x7fffff, v4
	v_sub_u32_e32 v4, 0x79, v14
	v_cmp_gt_u32_e32 vcc, s45, v14
	v_cndmask_b32_e32 v4, 0, v4, vcc
	v_cmp_eq_u32_e32 vcc, 0, v14
	v_cndmask_b32_e32 v15, v4, v10, vcc
	v_add_u32_e32 v4, 20, v15
	v_or_b32_e32 v6, 0x800000, v2
	v_lshlrev_b64 v[4:5], v4, -1
	v_cndmask_b32_e32 v2, v6, v2, vcc
	v_bfi_b32 v16, v4, 0, v2
	v_add_u32_e32 v4, 19, v15
	v_bfi_b32 v17, v5, 0, 0
	v_lshlrev_b64 v[18:19], v4, 1
	v_lshrrev_b64 v[4:5], v15, v[2:3]
	v_cmp_eq_u64_e64 s[0:1], v[16:17], v[18:19]
	v_mov_b32_e32 v6, v5
	v_mov_b32_e32 v5, v4
	s_and_saveexec_b64 s[18:19], s[0:1]
; %bb.31:                               ;   in Loop: Header=BB13_7 Depth=1
	v_bfe_u32 v2, v4, 20, 1
	v_add_co_u32_e64 v2, s[0:1], v4, v2
	v_add_co_u32_e64 v5, s[0:1], -1, v2
; %bb.32:                               ;   in Loop: Header=BB13_7 Depth=1
	s_or_b64 exec, exec, s[18:19]
	v_add_u32_e32 v2, 0xffffff81, v14
	v_cndmask_b32_e32 v2, v2, v11, vcc
	v_lshrrev_b32_e32 v6, 23, v4
	v_add3_u32 v15, v15, v2, v6
	v_add_u32_e32 v14, 6, v15
	v_and_b32_e32 v2, 0xfffff, v5
	v_add_u32_e32 v2, v2, v4
	v_cmp_ne_u32_e32 vcc, 0, v14
                                        ; implicit-def: $vgpr4_vgpr5
                                        ; implicit-def: $vgpr6
	s_and_saveexec_b64 s[0:1], vcc
	s_xor_b64 s[0:1], exec, s[0:1]
; %bb.33:                               ;   in Loop: Header=BB13_7 Depth=1
	v_cmp_lt_u64_e32 vcc, s[10:11], v[2:3]
	v_add_u32_e32 v4, 7, v15
	v_cndmask_b32_e32 v6, v14, v4, vcc
	v_cndmask_b32_e64 v4, 0, 1, vcc
	v_lshrrev_b64 v[4:5], v4, v[2:3]
; %bb.34:                               ;   in Loop: Header=BB13_7 Depth=1
	s_andn2_saveexec_b64 s[0:1], s[0:1]
; %bb.35:                               ;   in Loop: Header=BB13_7 Depth=1
	v_mov_b32_e32 v5, v3
	v_bfe_u32 v6, v2, 23, 1
	v_mov_b32_e32 v4, v2
; %bb.36:                               ;   in Loop: Header=BB13_7 Depth=1
	s_or_b64 exec, exec, s[0:1]
	v_lshrrev_b64 v[4:5], 20, v[4:5]
	v_cmp_gt_i32_e32 vcc, 16, v6
	v_cndmask_b32_e32 v5, 0, v5, vcc
	v_cndmask_b32_e32 v4, 7, v4, vcc
	v_cmp_ne_u64_e32 vcc, 0, v[4:5]
	v_cmp_ne_u32_e64 s[0:1], 0, v6
	s_or_b64 s[0:1], s[0:1], vcc
                                        ; implicit-def: $vgpr2
	s_and_saveexec_b64 s[18:19], s[0:1]
	s_xor_b64 s[0:1], exec, s[18:19]
; %bb.37:                               ;   in Loop: Header=BB13_7 Depth=1
	v_min_i32_e32 v2, 15, v6
	v_lshl_or_b32 v2, v2, 3, v13
	v_and_or_b32 v2, v4, 7, v2
                                        ; implicit-def: $vgpr13
; %bb.38:                               ;   in Loop: Header=BB13_7 Depth=1
	s_andn2_saveexec_b64 s[0:1], s[0:1]
; %bb.39:                               ;   in Loop: Header=BB13_7 Depth=1
	v_mov_b32_e32 v2, v13
; %bb.40:                               ;   in Loop: Header=BB13_7 Depth=1
	s_or_b64 exec, exec, s[0:1]
.LBB13_41:                              ;   in Loop: Header=BB13_7 Depth=1
	s_or_b64 exec, exec, s[16:17]
                                        ; implicit-def: $vgpr13
.LBB13_42:                              ;   in Loop: Header=BB13_7 Depth=1
	s_andn2_saveexec_b64 s[0:1], s[14:15]
; %bb.43:                               ;   in Loop: Header=BB13_7 Depth=1
	v_or_b32_e32 v2, 0x7e, v13
; %bb.44:                               ;   in Loop: Header=BB13_7 Depth=1
	s_or_b64 exec, exec, s[0:1]
                                        ; implicit-def: $vgpr4
.LBB13_45:                              ;   in Loop: Header=BB13_7 Depth=1
	s_andn2_saveexec_b64 s[0:1], s[12:13]
	s_cbranch_execz .LBB13_6
; %bb.46:                               ;   in Loop: Header=BB13_7 Depth=1
	v_or_b32_sdwa v2, v4, s46 dst_sel:DWORD dst_unused:UNUSED_PAD src0_sel:BYTE_3 src1_sel:DWORD
	s_branch .LBB13_6
.LBB13_47:
	s_endpgm
.LBB13_48:
                                        ; implicit-def: $sgpr22_sgpr23
	s_branch .LBB13_3
	.section	.rodata,"a",@progbits
	.p2align	6, 0x0
	.amdhsa_kernel _ZN4vllm24reshape_and_cache_kernelI14__hip_bfloat16hLNS_18Fp8KVCacheDataTypeE1EEEvPKT_S5_PT0_S7_PKliiiiiiPKfSB_
		.amdhsa_group_segment_fixed_size 0
		.amdhsa_private_segment_fixed_size 0
		.amdhsa_kernarg_size 336
		.amdhsa_user_sgpr_count 6
		.amdhsa_user_sgpr_private_segment_buffer 1
		.amdhsa_user_sgpr_dispatch_ptr 0
		.amdhsa_user_sgpr_queue_ptr 0
		.amdhsa_user_sgpr_kernarg_segment_ptr 1
		.amdhsa_user_sgpr_dispatch_id 0
		.amdhsa_user_sgpr_flat_scratch_init 0
		.amdhsa_user_sgpr_private_segment_size 0
		.amdhsa_uses_dynamic_stack 0
		.amdhsa_system_sgpr_private_segment_wavefront_offset 0
		.amdhsa_system_sgpr_workgroup_id_x 1
		.amdhsa_system_sgpr_workgroup_id_y 0
		.amdhsa_system_sgpr_workgroup_id_z 0
		.amdhsa_system_sgpr_workgroup_info 0
		.amdhsa_system_vgpr_workitem_id 0
		.amdhsa_next_free_vgpr 20
		.amdhsa_next_free_sgpr 47
		.amdhsa_reserve_vcc 1
		.amdhsa_reserve_flat_scratch 0
		.amdhsa_float_round_mode_32 0
		.amdhsa_float_round_mode_16_64 0
		.amdhsa_float_denorm_mode_32 3
		.amdhsa_float_denorm_mode_16_64 3
		.amdhsa_dx10_clamp 1
		.amdhsa_ieee_mode 1
		.amdhsa_fp16_overflow 0
		.amdhsa_exception_fp_ieee_invalid_op 0
		.amdhsa_exception_fp_denorm_src 0
		.amdhsa_exception_fp_ieee_div_zero 0
		.amdhsa_exception_fp_ieee_overflow 0
		.amdhsa_exception_fp_ieee_underflow 0
		.amdhsa_exception_fp_ieee_inexact 0
		.amdhsa_exception_int_div_zero 0
	.end_amdhsa_kernel
	.section	.text._ZN4vllm24reshape_and_cache_kernelI14__hip_bfloat16hLNS_18Fp8KVCacheDataTypeE1EEEvPKT_S5_PT0_S7_PKliiiiiiPKfSB_,"axG",@progbits,_ZN4vllm24reshape_and_cache_kernelI14__hip_bfloat16hLNS_18Fp8KVCacheDataTypeE1EEEvPKT_S5_PT0_S7_PKliiiiiiPKfSB_,comdat
.Lfunc_end13:
	.size	_ZN4vllm24reshape_and_cache_kernelI14__hip_bfloat16hLNS_18Fp8KVCacheDataTypeE1EEEvPKT_S5_PT0_S7_PKliiiiiiPKfSB_, .Lfunc_end13-_ZN4vllm24reshape_and_cache_kernelI14__hip_bfloat16hLNS_18Fp8KVCacheDataTypeE1EEEvPKT_S5_PT0_S7_PKliiiiiiPKfSB_
                                        ; -- End function
	.set _ZN4vllm24reshape_and_cache_kernelI14__hip_bfloat16hLNS_18Fp8KVCacheDataTypeE1EEEvPKT_S5_PT0_S7_PKliiiiiiPKfSB_.num_vgpr, 20
	.set _ZN4vllm24reshape_and_cache_kernelI14__hip_bfloat16hLNS_18Fp8KVCacheDataTypeE1EEEvPKT_S5_PT0_S7_PKliiiiiiPKfSB_.num_agpr, 0
	.set _ZN4vllm24reshape_and_cache_kernelI14__hip_bfloat16hLNS_18Fp8KVCacheDataTypeE1EEEvPKT_S5_PT0_S7_PKliiiiiiPKfSB_.numbered_sgpr, 47
	.set _ZN4vllm24reshape_and_cache_kernelI14__hip_bfloat16hLNS_18Fp8KVCacheDataTypeE1EEEvPKT_S5_PT0_S7_PKliiiiiiPKfSB_.num_named_barrier, 0
	.set _ZN4vllm24reshape_and_cache_kernelI14__hip_bfloat16hLNS_18Fp8KVCacheDataTypeE1EEEvPKT_S5_PT0_S7_PKliiiiiiPKfSB_.private_seg_size, 0
	.set _ZN4vllm24reshape_and_cache_kernelI14__hip_bfloat16hLNS_18Fp8KVCacheDataTypeE1EEEvPKT_S5_PT0_S7_PKliiiiiiPKfSB_.uses_vcc, 1
	.set _ZN4vllm24reshape_and_cache_kernelI14__hip_bfloat16hLNS_18Fp8KVCacheDataTypeE1EEEvPKT_S5_PT0_S7_PKliiiiiiPKfSB_.uses_flat_scratch, 0
	.set _ZN4vllm24reshape_and_cache_kernelI14__hip_bfloat16hLNS_18Fp8KVCacheDataTypeE1EEEvPKT_S5_PT0_S7_PKliiiiiiPKfSB_.has_dyn_sized_stack, 0
	.set _ZN4vllm24reshape_and_cache_kernelI14__hip_bfloat16hLNS_18Fp8KVCacheDataTypeE1EEEvPKT_S5_PT0_S7_PKliiiiiiPKfSB_.has_recursion, 0
	.set _ZN4vllm24reshape_and_cache_kernelI14__hip_bfloat16hLNS_18Fp8KVCacheDataTypeE1EEEvPKT_S5_PT0_S7_PKliiiiiiPKfSB_.has_indirect_call, 0
	.section	.AMDGPU.csdata,"",@progbits
; Kernel info:
; codeLenInByte = 2724
; TotalNumSgprs: 51
; NumVgprs: 20
; ScratchSize: 0
; MemoryBound: 0
; FloatMode: 240
; IeeeMode: 1
; LDSByteSize: 0 bytes/workgroup (compile time only)
; SGPRBlocks: 6
; VGPRBlocks: 4
; NumSGPRsForWavesPerEU: 51
; NumVGPRsForWavesPerEU: 20
; Occupancy: 10
; WaveLimiterHint : 1
; COMPUTE_PGM_RSRC2:SCRATCH_EN: 0
; COMPUTE_PGM_RSRC2:USER_SGPR: 6
; COMPUTE_PGM_RSRC2:TRAP_HANDLER: 0
; COMPUTE_PGM_RSRC2:TGID_X_EN: 1
; COMPUTE_PGM_RSRC2:TGID_Y_EN: 0
; COMPUTE_PGM_RSRC2:TGID_Z_EN: 0
; COMPUTE_PGM_RSRC2:TIDIG_COMP_CNT: 0
	.section	.text._ZN4vllm30reshape_and_cache_flash_kernelIffLNS_18Fp8KVCacheDataTypeE0EEEvPKT_S4_PT0_S6_PKlllllliiiPKfSA_,"axG",@progbits,_ZN4vllm30reshape_and_cache_flash_kernelIffLNS_18Fp8KVCacheDataTypeE0EEEvPKT_S4_PT0_S6_PKlllllliiiPKfSA_,comdat
	.protected	_ZN4vllm30reshape_and_cache_flash_kernelIffLNS_18Fp8KVCacheDataTypeE0EEEvPKT_S4_PT0_S6_PKlllllliiiPKfSA_ ; -- Begin function _ZN4vllm30reshape_and_cache_flash_kernelIffLNS_18Fp8KVCacheDataTypeE0EEEvPKT_S4_PT0_S6_PKlllllliiiPKfSA_
	.globl	_ZN4vllm30reshape_and_cache_flash_kernelIffLNS_18Fp8KVCacheDataTypeE0EEEvPKT_S4_PT0_S6_PKlllllliiiPKfSA_
	.p2align	8
	.type	_ZN4vllm30reshape_and_cache_flash_kernelIffLNS_18Fp8KVCacheDataTypeE0EEEvPKT_S4_PT0_S6_PKlllllliiiPKfSA_,@function
_ZN4vllm30reshape_and_cache_flash_kernelIffLNS_18Fp8KVCacheDataTypeE0EEEvPKT_S4_PT0_S6_PKlllllliiiPKfSA_: ; @_ZN4vllm30reshape_and_cache_flash_kernelIffLNS_18Fp8KVCacheDataTypeE0EEEvPKT_S4_PT0_S6_PKlllllliiiPKfSA_
; %bb.0:
	s_load_dwordx2 s[0:1], s[4:5], 0x20
	s_mov_b32 s7, 0
	s_lshl_b64 s[2:3], s[6:7], 3
	s_waitcnt lgkmcnt(0)
	s_add_u32 s0, s0, s2
	s_addc_u32 s1, s1, s3
	s_load_dwordx2 s[0:1], s[0:1], 0x0
	s_waitcnt lgkmcnt(0)
	v_cmp_lt_i64_e64 s[2:3], s[0:1], 0
	s_and_b64 vcc, exec, s[2:3]
	s_cbranch_vccnz .LBB14_71
; %bb.1:
	s_load_dwordx4 s[24:27], s[4:5], 0x50
	s_load_dwordx8 s[8:15], s[4:5], 0x0
	s_waitcnt lgkmcnt(0)
	s_ashr_i32 s27, s26, 31
	s_or_b64 s[2:3], s[0:1], s[26:27]
	s_mov_b32 s2, s7
	s_cmp_lg_u64 s[2:3], 0
	s_cbranch_scc0 .LBB14_72
; %bb.2:
	s_ashr_i32 s2, s27, 31
	s_add_u32 s16, s26, s2
	s_mov_b32 s3, s2
	s_addc_u32 s17, s27, s2
	s_xor_b64 s[18:19], s[16:17], s[2:3]
	v_cvt_f32_u32_e32 v1, s18
	v_cvt_f32_u32_e32 v2, s19
	s_sub_u32 s7, 0, s18
	s_subb_u32 s22, 0, s19
	v_madmk_f32 v1, v2, 0x4f800000, v1
	v_rcp_f32_e32 v1, v1
	v_mul_f32_e32 v1, 0x5f7ffffc, v1
	v_mul_f32_e32 v2, 0x2f800000, v1
	v_trunc_f32_e32 v2, v2
	v_madmk_f32 v1, v2, 0xcf800000, v1
	v_cvt_u32_f32_e32 v2, v2
	v_cvt_u32_f32_e32 v1, v1
	v_readfirstlane_b32 s23, v2
	v_readfirstlane_b32 s20, v1
	s_mul_i32 s21, s7, s23
	s_mul_hi_u32 s29, s7, s20
	s_mul_i32 s28, s22, s20
	s_add_i32 s21, s29, s21
	s_add_i32 s21, s21, s28
	s_mul_i32 s30, s7, s20
	s_mul_i32 s29, s20, s21
	s_mul_hi_u32 s31, s20, s30
	s_mul_hi_u32 s28, s20, s21
	s_add_u32 s29, s31, s29
	s_addc_u32 s28, 0, s28
	s_mul_hi_u32 s33, s23, s30
	s_mul_i32 s30, s23, s30
	s_add_u32 s29, s29, s30
	s_mul_hi_u32 s31, s23, s21
	s_addc_u32 s28, s28, s33
	s_addc_u32 s29, s31, 0
	s_mul_i32 s21, s23, s21
	s_add_u32 s21, s28, s21
	s_addc_u32 s28, 0, s29
	s_add_u32 s29, s20, s21
	s_cselect_b64 s[20:21], -1, 0
	s_cmp_lg_u64 s[20:21], 0
	s_addc_u32 s23, s23, s28
	s_mul_i32 s20, s7, s23
	s_mul_hi_u32 s21, s7, s29
	s_add_i32 s20, s21, s20
	s_mul_i32 s22, s22, s29
	s_add_i32 s20, s20, s22
	s_mul_i32 s7, s7, s29
	s_mul_hi_u32 s22, s23, s7
	s_mul_i32 s28, s23, s7
	s_mul_i32 s31, s29, s20
	s_mul_hi_u32 s7, s29, s7
	s_mul_hi_u32 s30, s29, s20
	s_add_u32 s7, s7, s31
	s_addc_u32 s30, 0, s30
	s_add_u32 s7, s7, s28
	s_mul_hi_u32 s21, s23, s20
	s_addc_u32 s7, s30, s22
	s_addc_u32 s21, s21, 0
	s_mul_i32 s20, s23, s20
	s_add_u32 s7, s7, s20
	s_addc_u32 s22, 0, s21
	s_add_u32 s7, s29, s7
	s_cselect_b64 s[20:21], -1, 0
	s_cmp_lg_u64 s[20:21], 0
	s_addc_u32 s28, s23, s22
	s_ashr_i32 s20, s1, 31
	s_add_u32 s22, s0, s20
	s_mov_b32 s21, s20
	s_addc_u32 s23, s1, s20
	s_xor_b64 s[22:23], s[22:23], s[20:21]
	s_mul_i32 s30, s22, s28
	s_mul_hi_u32 s31, s22, s7
	s_mul_hi_u32 s29, s22, s28
	s_add_u32 s30, s31, s30
	s_addc_u32 s29, 0, s29
	s_mul_hi_u32 s33, s23, s7
	s_mul_i32 s7, s23, s7
	s_add_u32 s7, s30, s7
	s_mul_hi_u32 s31, s23, s28
	s_addc_u32 s7, s29, s33
	s_addc_u32 s29, s31, 0
	s_mul_i32 s28, s23, s28
	s_add_u32 s7, s7, s28
	s_addc_u32 s33, 0, s29
	s_mul_i32 s28, s18, s33
	s_mul_hi_u32 s29, s18, s7
	s_add_i32 s28, s29, s28
	s_mul_i32 s29, s19, s7
	s_add_i32 s34, s28, s29
	s_sub_i32 s30, s23, s34
	s_mul_i32 s28, s18, s7
	s_sub_u32 s22, s22, s28
	s_cselect_b64 s[28:29], -1, 0
	s_cmp_lg_u64 s[28:29], 0
	s_subb_u32 s35, s30, s19
	s_sub_u32 s36, s22, s18
	s_cselect_b64 s[30:31], -1, 0
	s_cmp_lg_u64 s[30:31], 0
	s_subb_u32 s30, s35, 0
	s_cmp_ge_u32 s30, s19
	s_cselect_b32 s31, -1, 0
	s_cmp_ge_u32 s36, s18
	s_cselect_b32 s35, -1, 0
	s_cmp_eq_u32 s30, s19
	s_cselect_b32 s30, s35, s31
	s_add_u32 s31, s7, 1
	s_addc_u32 s35, s33, 0
	s_add_u32 s36, s7, 2
	s_addc_u32 s37, s33, 0
	s_cmp_lg_u32 s30, 0
	s_cselect_b32 s30, s36, s31
	s_cselect_b32 s31, s37, s35
	s_cmp_lg_u64 s[28:29], 0
	s_subb_u32 s23, s23, s34
	s_cmp_ge_u32 s23, s19
	s_cselect_b32 s28, -1, 0
	s_cmp_ge_u32 s22, s18
	s_cselect_b32 s18, -1, 0
	s_cmp_eq_u32 s23, s19
	s_cselect_b32 s18, s18, s28
	s_cmp_lg_u32 s18, 0
	s_cselect_b32 s19, s31, s33
	s_cselect_b32 s18, s30, s7
	s_xor_b64 s[2:3], s[20:21], s[2:3]
	s_xor_b64 s[18:19], s[18:19], s[2:3]
	s_sub_u32 s2, s18, s2
	s_subb_u32 s3, s19, s3
	s_cbranch_execnz .LBB14_4
.LBB14_3:
	v_cvt_f32_u32_e32 v1, s26
	s_sub_i32 s2, 0, s26
	s_mov_b32 s3, 0
	v_rcp_iflag_f32_e32 v1, v1
	v_mul_f32_e32 v1, 0x4f7ffffe, v1
	v_cvt_u32_f32_e32 v1, v1
	v_readfirstlane_b32 s7, v1
	s_mul_i32 s2, s2, s7
	s_mul_hi_u32 s2, s7, s2
	s_add_i32 s7, s7, s2
	s_mul_hi_u32 s2, s0, s7
	s_mul_i32 s16, s2, s26
	s_sub_i32 s16, s0, s16
	s_add_i32 s7, s2, 1
	s_sub_i32 s17, s16, s26
	s_cmp_ge_u32 s16, s26
	s_cselect_b32 s2, s7, s2
	s_cselect_b32 s16, s17, s16
	s_add_i32 s7, s2, 1
	s_cmp_ge_u32 s16, s26
	s_cselect_b32 s2, s7, s2
.LBB14_4:
	s_load_dwordx8 s[16:23], s[4:5], 0x28
	s_load_dwordx2 s[28:29], s[4:5], 0x48
	s_mul_i32 s7, s2, s27
	s_mul_hi_u32 s27, s2, s26
	s_add_i32 s7, s27, s7
	s_mul_i32 s27, s3, s26
	s_add_i32 s7, s7, s27
	s_mul_i32 s26, s2, s26
	s_sub_u32 s26, s0, s26
	s_subb_u32 s27, s1, s7
	s_waitcnt lgkmcnt(0)
	s_mul_i32 s0, s23, s6
	s_mul_hi_u32 s1, s22, s6
	s_add_i32 s1, s1, s0
	s_mul_i32 s0, s22, s6
	s_lshl_b64 s[22:23], s[0:1], 2
	s_add_u32 s46, s8, s22
	s_mul_i32 s0, s29, s6
	s_mul_hi_u32 s1, s28, s6
	s_addc_u32 s47, s9, s23
	s_add_i32 s1, s1, s0
	s_mul_i32 s0, s28, s6
	s_lshl_b64 s[6:7], s[0:1], 2
	s_add_u32 s33, s10, s6
	s_mul_i32 s0, s2, s17
	s_mul_hi_u32 s1, s2, s16
	s_addc_u32 s44, s11, s7
	s_add_i32 s0, s1, s0
	s_mul_i32 s1, s3, s16
	s_add_i32 s1, s0, s1
	s_mul_i32 s0, s2, s16
	s_lshl_b64 s[16:17], s[0:1], 2
	s_add_u32 s2, s12, s16
	s_mul_i32 s0, s26, s19
	s_mul_hi_u32 s1, s26, s18
	s_addc_u32 s3, s13, s17
	s_add_i32 s0, s1, s0
	s_mul_i32 s27, s27, s18
	s_add_i32 s1, s0, s27
	s_mul_i32 s0, s26, s18
	s_lshl_b64 s[18:19], s[0:1], 2
	s_load_dword s4, s[4:5], 0x7c
	s_add_u32 s48, s2, s18
	s_addc_u32 s49, s3, s19
	s_add_u32 s0, s14, s16
	s_addc_u32 s1, s15, s17
	;; [unrolled: 2-line block ×3, first 2 shown]
	s_ashr_i32 s1, s25, 31
	s_mov_b32 s0, s25
	s_waitcnt lgkmcnt(0)
	s_and_b32 s43, s4, 0xffff
	s_cmp_lg_u64 s[20:21], s[0:1]
	s_mov_b64 s[0:1], -1
	s_cbranch_scc0 .LBB14_39
; %bb.5:
	v_lshrrev_b32_e32 v24, 5, v0
	v_cmp_gt_i32_e32 vcc, s24, v24
	s_and_saveexec_b64 s[26:27], vcc
	s_cbranch_execz .LBB14_38
; %bb.6:
	v_mad_u64_u32 v[3:4], s[0:1], s20, v24, 0
	s_lshr_b32 s50, s43, 5
	s_and_b32 s0, s25, 3
	v_mov_b32_e32 v1, v4
	s_cmp_eq_u32 s0, 0
	v_mad_u64_u32 v[1:2], s[0:1], s21, v24, v[1:2]
	s_cselect_b64 s[2:3], -1, 0
	s_ashr_i32 s51, s25, 2
	v_mov_b32_e32 v4, v1
	v_lshlrev_b64 v[3:4], 2, v[3:4]
	s_add_u32 s4, s18, s16
	s_addc_u32 s5, s19, s17
	v_and_b32_e32 v25, 31, v0
	v_mov_b32_e32 v1, s5
	v_add_co_u32_e32 v6, vcc, s4, v3
	v_addc_co_u32_e32 v1, vcc, v1, v4, vcc
	v_lshlrev_b32_e32 v26, 4, v25
	s_mul_i32 s4, s21, s50
	s_mul_hi_u32 s5, s20, s50
	v_add_co_u32_e32 v9, vcc, v6, v26
	s_add_i32 s5, s5, s4
	s_mul_i32 s4, s20, s50
	v_addc_co_u32_e32 v10, vcc, 0, v1, vcc
	s_lshl_b64 s[28:29], s[4:5], 2
	v_mov_b32_e32 v4, s13
	v_add_co_u32_e32 v3, vcc, s12, v9
	s_add_u32 s52, s8, s22
	v_addc_co_u32_e32 v4, vcc, v4, v10, vcc
	s_addc_u32 s53, s9, s23
	v_mov_b32_e32 v5, s53
	v_add_co_u32_e32 v27, vcc, s52, v26
	v_addc_co_u32_e32 v28, vcc, 0, v5, vcc
	v_mov_b32_e32 v8, s13
	v_add_co_u32_e32 v7, vcc, s12, v6
	v_addc_co_u32_e32 v8, vcc, v8, v1, vcc
	;; [unrolled: 3-line block ×3, first 2 shown]
	v_mul_lo_u32 v5, s25, v24
	s_add_u32 s55, s10, s6
	v_mov_b32_e32 v12, s15
	v_add_co_u32_e32 v11, vcc, s14, v6
	s_addc_u32 s56, s11, s7
	v_addc_co_u32_e32 v12, vcc, v12, v1, vcc
	v_mov_b32_e32 v1, s56
	v_add_co_u32_e32 v29, vcc, s55, v26
	v_cmp_gt_i32_e64 s[0:1], s51, v25
	v_mov_b32_e32 v2, 0
	s_mul_i32 s54, s25, s50
	v_addc_co_u32_e32 v30, vcc, 0, v1, vcc
	s_mov_b64 s[30:31], 0
	s_xor_b64 s[34:35], s[2:3], -1
	s_branch .LBB14_9
.LBB14_7:                               ;   in Loop: Header=BB14_9 Depth=1
	s_or_b64 exec, exec, s[36:37]
.LBB14_8:                               ;   in Loop: Header=BB14_9 Depth=1
	s_or_b64 exec, exec, s[4:5]
	v_mov_b32_e32 v1, s29
	v_add_co_u32_e32 v3, vcc, s28, v3
	v_addc_co_u32_e32 v4, vcc, v4, v1, vcc
	v_add_co_u32_e32 v7, vcc, s28, v7
	v_addc_co_u32_e32 v8, vcc, v8, v1, vcc
	v_add_co_u32_e32 v9, vcc, s28, v9
	v_add_u32_e32 v24, s50, v24
	v_addc_co_u32_e32 v10, vcc, v10, v1, vcc
	v_cmp_le_i32_e32 vcc, s24, v24
	s_or_b64 s[30:31], vcc, s[30:31]
	v_add_co_u32_e32 v11, vcc, s28, v11
	v_add_u32_e32 v5, s54, v5
	v_addc_co_u32_e32 v12, vcc, v12, v1, vcc
	s_andn2_b64 exec, exec, s[30:31]
	s_cbranch_execz .LBB14_38
.LBB14_9:                               ; =>This Loop Header: Depth=1
                                        ;     Child Loop BB14_14 Depth 2
                                        ;     Child Loop BB14_17 Depth 2
	;; [unrolled: 1-line block ×6, first 2 shown]
	v_mul_lo_u32 v17, v24, s25
	v_mad_u64_u32 v[15:16], s[2:3], s20, v24, 0
	v_ashrrev_i32_e32 v6, 31, v5
	v_ashrrev_i32_e32 v18, 31, v17
	v_lshlrev_b64 v[17:18], 2, v[17:18]
	v_mov_b32_e32 v1, v16
	v_lshlrev_b64 v[13:14], 2, v[5:6]
	v_mov_b32_e32 v21, s47
	v_mad_u64_u32 v[19:20], s[2:3], s21, v24, v[1:2]
	v_add_co_u32_e32 v6, vcc, s46, v17
	v_addc_co_u32_e32 v20, vcc, v21, v18, vcc
	v_and_b32_e32 v1, 15, v6
	v_cmp_ne_u64_e32 vcc, 0, v[1:2]
	v_mov_b32_e32 v16, v19
	s_or_b64 s[2:3], s[34:35], vcc
	s_and_saveexec_b64 s[4:5], s[2:3]
	s_xor_b64 s[36:37], exec, s[4:5]
	s_cbranch_execz .LBB14_19
; %bb.10:                               ;   in Loop: Header=BB14_9 Depth=1
	v_sub_u32_e32 v1, 0, v6
	v_bfe_u32 v1, v1, 2, 2
	v_min_i32_e32 v19, s25, v1
	v_cmp_lt_i32_e32 vcc, v25, v19
	s_and_saveexec_b64 s[2:3], vcc
	s_cbranch_execz .LBB14_12
; %bb.11:                               ;   in Loop: Header=BB14_9 Depth=1
	v_lshlrev_b32_e32 v1, 2, v25
	v_add_co_u32_e32 v21, vcc, v6, v1
	v_addc_co_u32_e32 v22, vcc, 0, v20, vcc
	global_load_dword v6, v[21:22], off
	v_lshlrev_b64 v[20:21], 2, v[15:16]
	v_mov_b32_e32 v22, s49
	v_add_co_u32_e32 v20, vcc, s48, v20
	v_addc_co_u32_e32 v21, vcc, v22, v21, vcc
	v_add_co_u32_e32 v20, vcc, v20, v1
	v_addc_co_u32_e32 v21, vcc, 0, v21, vcc
	s_waitcnt vmcnt(0)
	global_store_dword v[20:21], v6, off
.LBB14_12:                              ;   in Loop: Header=BB14_9 Depth=1
	s_or_b64 exec, exec, s[2:3]
	v_sub_u32_e32 v1, s25, v19
	v_ashrrev_i32_e32 v6, 31, v1
	v_lshrrev_b32_e32 v6, 30, v6
	v_ashrrev_i32_e32 v20, 31, v19
	v_add_u32_e32 v6, v1, v6
	v_ashrrev_i32_e32 v6, 2, v6
	v_lshlrev_b64 v[19:20], 2, v[19:20]
	v_cmp_lt_i32_e32 vcc, v25, v6
	s_and_saveexec_b64 s[38:39], vcc
	s_cbranch_execz .LBB14_15
; %bb.13:                               ;   in Loop: Header=BB14_9 Depth=1
	v_add_co_u32_e32 v23, vcc, v27, v13
	v_mov_b32_e32 v22, v4
	v_addc_co_u32_e32 v31, vcc, v28, v14, vcc
	s_mov_b64 s[40:41], 0
	v_mov_b32_e32 v21, v3
	v_mov_b32_e32 v32, v25
.LBB14_14:                              ;   Parent Loop BB14_9 Depth=1
                                        ; =>  This Inner Loop Header: Depth=2
	v_add_co_u32_e32 v33, vcc, v23, v19
	v_addc_co_u32_e32 v34, vcc, v31, v20, vcc
	global_load_dwordx4 v[33:36], v[33:34], off
	v_add_co_u32_e64 v37, s[2:3], v21, v19
	v_add_co_u32_e32 v21, vcc, 0x200, v21
	v_add_u32_e32 v32, 32, v32
	s_mov_b64 s[4:5], vcc
	v_addc_co_u32_e64 v38, vcc, v22, v20, s[2:3]
	v_add_co_u32_e32 v23, vcc, 0x200, v23
	v_cmp_ge_i32_e64 s[2:3], v32, v6
	v_addc_co_u32_e64 v22, s[4:5], 0, v22, s[4:5]
	s_or_b64 s[40:41], s[2:3], s[40:41]
	v_addc_co_u32_e32 v31, vcc, 0, v31, vcc
	s_waitcnt vmcnt(0)
	global_store_dwordx4 v[37:38], v[33:36], off
	s_andn2_b64 exec, exec, s[40:41]
	s_cbranch_execnz .LBB14_14
.LBB14_15:                              ;   in Loop: Header=BB14_9 Depth=1
	s_or_b64 exec, exec, s[38:39]
	v_lshl_add_u32 v21, v6, 2, v25
	v_cmp_lt_i32_e32 vcc, v21, v1
	s_and_saveexec_b64 s[2:3], vcc
	s_cbranch_execz .LBB14_18
; %bb.16:                               ;   in Loop: Header=BB14_9 Depth=1
	v_ashrrev_i32_e32 v22, 31, v21
	v_lshlrev_b64 v[22:23], 2, v[21:22]
	s_mov_b64 s[4:5], 0
	v_add_co_u32_e32 v6, vcc, v19, v22
	v_addc_co_u32_e32 v23, vcc, v20, v23, vcc
	v_add_co_u32_e32 v19, vcc, v6, v13
	v_addc_co_u32_e32 v20, vcc, v23, v14, vcc
	v_mov_b32_e32 v22, s53
	v_add_co_u32_e32 v19, vcc, s52, v19
	v_addc_co_u32_e32 v20, vcc, v22, v20, vcc
	v_add_co_u32_e32 v22, vcc, v7, v6
	v_addc_co_u32_e32 v23, vcc, v8, v23, vcc
.LBB14_17:                              ;   Parent Loop BB14_9 Depth=1
                                        ; =>  This Inner Loop Header: Depth=2
	global_load_dword v6, v[19:20], off
	v_add_co_u32_e32 v19, vcc, 0x80, v19
	v_add_u32_e32 v21, 32, v21
	v_addc_co_u32_e32 v20, vcc, 0, v20, vcc
	v_cmp_ge_i32_e32 vcc, v21, v1
	s_or_b64 s[4:5], vcc, s[4:5]
	s_waitcnt vmcnt(0)
	global_store_dword v[22:23], v6, off
	v_add_co_u32_e32 v22, vcc, 0x80, v22
	v_addc_co_u32_e32 v23, vcc, 0, v23, vcc
	s_andn2_b64 exec, exec, s[4:5]
	s_cbranch_execnz .LBB14_17
.LBB14_18:                              ;   in Loop: Header=BB14_9 Depth=1
	s_or_b64 exec, exec, s[2:3]
.LBB14_19:                              ;   in Loop: Header=BB14_9 Depth=1
	s_andn2_saveexec_b64 s[4:5], s[36:37]
	s_cbranch_execz .LBB14_24
; %bb.20:                               ;   in Loop: Header=BB14_9 Depth=1
	s_and_saveexec_b64 s[36:37], s[0:1]
	s_cbranch_execz .LBB14_23
; %bb.21:                               ;   in Loop: Header=BB14_9 Depth=1
	v_mov_b32_e32 v6, s53
	v_add_co_u32_e32 v1, vcc, s52, v13
	v_mov_b32_e32 v20, v8
	v_addc_co_u32_e32 v6, vcc, v6, v14, vcc
	s_mov_b64 s[38:39], 0
	v_mov_b32_e32 v19, v7
	v_mov_b32_e32 v21, v25
.LBB14_22:                              ;   Parent Loop BB14_9 Depth=1
                                        ; =>  This Inner Loop Header: Depth=2
	v_add_co_u32_e32 v22, vcc, v1, v26
	v_addc_co_u32_e32 v23, vcc, 0, v6, vcc
	global_load_dwordx4 v[31:34], v[22:23], off
	v_add_co_u32_e32 v22, vcc, v19, v26
	v_addc_co_u32_e32 v23, vcc, 0, v20, vcc
	v_add_co_u32_e32 v19, vcc, 0x200, v19
	v_add_u32_e32 v21, 32, v21
	v_addc_co_u32_e32 v20, vcc, 0, v20, vcc
	v_add_co_u32_e32 v1, vcc, 0x200, v1
	v_cmp_le_i32_e64 s[2:3], s51, v21
	v_addc_co_u32_e32 v6, vcc, 0, v6, vcc
	s_or_b64 s[38:39], s[2:3], s[38:39]
	s_waitcnt vmcnt(0)
	global_store_dwordx4 v[22:23], v[31:34], off
	s_andn2_b64 exec, exec, s[38:39]
	s_cbranch_execnz .LBB14_22
.LBB14_23:                              ;   in Loop: Header=BB14_9 Depth=1
	s_or_b64 exec, exec, s[36:37]
.LBB14_24:                              ;   in Loop: Header=BB14_9 Depth=1
	s_or_b64 exec, exec, s[4:5]
	v_mov_b32_e32 v1, s44
	v_add_co_u32_e32 v6, vcc, s33, v17
	v_addc_co_u32_e32 v18, vcc, v1, v18, vcc
	v_and_b32_e32 v1, 15, v6
	v_cmp_ne_u64_e32 vcc, 0, v[1:2]
	s_or_b64 s[2:3], s[34:35], vcc
	s_and_saveexec_b64 s[4:5], s[2:3]
	s_xor_b64 s[4:5], exec, s[4:5]
	s_cbranch_execz .LBB14_34
; %bb.25:                               ;   in Loop: Header=BB14_9 Depth=1
	v_sub_u32_e32 v1, 0, v6
	v_bfe_u32 v1, v1, 2, 2
	v_min_i32_e32 v17, s25, v1
	v_cmp_lt_i32_e32 vcc, v25, v17
	s_and_saveexec_b64 s[2:3], vcc
	s_cbranch_execz .LBB14_27
; %bb.26:                               ;   in Loop: Header=BB14_9 Depth=1
	v_lshlrev_b32_e32 v1, 2, v25
	v_add_co_u32_e32 v19, vcc, v6, v1
	v_addc_co_u32_e32 v20, vcc, 0, v18, vcc
	global_load_dword v6, v[19:20], off
	v_lshlrev_b64 v[15:16], 2, v[15:16]
	v_mov_b32_e32 v18, s45
	v_add_co_u32_e32 v15, vcc, s42, v15
	v_addc_co_u32_e32 v16, vcc, v18, v16, vcc
	v_add_co_u32_e32 v15, vcc, v15, v1
	v_addc_co_u32_e32 v16, vcc, 0, v16, vcc
	s_waitcnt vmcnt(0)
	global_store_dword v[15:16], v6, off
.LBB14_27:                              ;   in Loop: Header=BB14_9 Depth=1
	s_or_b64 exec, exec, s[2:3]
	v_sub_u32_e32 v1, s25, v17
	v_ashrrev_i32_e32 v6, 31, v1
	v_lshrrev_b32_e32 v6, 30, v6
	v_ashrrev_i32_e32 v18, 31, v17
	v_add_u32_e32 v6, v1, v6
	v_ashrrev_i32_e32 v6, 2, v6
	v_lshlrev_b64 v[15:16], 2, v[17:18]
	v_cmp_lt_i32_e32 vcc, v25, v6
	s_and_saveexec_b64 s[36:37], vcc
	s_cbranch_execz .LBB14_30
; %bb.28:                               ;   in Loop: Header=BB14_9 Depth=1
	v_add_co_u32_e32 v19, vcc, v29, v13
	v_mov_b32_e32 v18, v10
	v_addc_co_u32_e32 v20, vcc, v30, v14, vcc
	s_mov_b64 s[38:39], 0
	v_mov_b32_e32 v17, v9
	v_mov_b32_e32 v21, v25
.LBB14_29:                              ;   Parent Loop BB14_9 Depth=1
                                        ; =>  This Inner Loop Header: Depth=2
	v_add_co_u32_e32 v22, vcc, v19, v15
	v_addc_co_u32_e32 v23, vcc, v20, v16, vcc
	global_load_dwordx4 v[31:34], v[22:23], off
	v_add_co_u32_e32 v22, vcc, v17, v15
	v_addc_co_u32_e32 v23, vcc, v18, v16, vcc
	v_add_co_u32_e32 v17, vcc, 0x200, v17
	v_add_u32_e32 v21, 32, v21
	v_addc_co_u32_e32 v18, vcc, 0, v18, vcc
	v_add_co_u32_e32 v19, vcc, 0x200, v19
	v_cmp_ge_i32_e64 s[2:3], v21, v6
	v_addc_co_u32_e32 v20, vcc, 0, v20, vcc
	s_or_b64 s[38:39], s[2:3], s[38:39]
	s_waitcnt vmcnt(0)
	global_store_dwordx4 v[22:23], v[31:34], off
	s_andn2_b64 exec, exec, s[38:39]
	s_cbranch_execnz .LBB14_29
.LBB14_30:                              ;   in Loop: Header=BB14_9 Depth=1
	s_or_b64 exec, exec, s[36:37]
	v_lshl_add_u32 v17, v6, 2, v25
	v_cmp_lt_i32_e32 vcc, v17, v1
	s_and_saveexec_b64 s[2:3], vcc
	s_cbranch_execz .LBB14_33
; %bb.31:                               ;   in Loop: Header=BB14_9 Depth=1
	v_ashrrev_i32_e32 v18, 31, v17
	v_lshlrev_b64 v[18:19], 2, v[17:18]
	s_mov_b64 s[36:37], 0
	v_add_co_u32_e32 v6, vcc, v15, v18
	v_addc_co_u32_e32 v16, vcc, v16, v19, vcc
	v_add_co_u32_e32 v13, vcc, v6, v13
	v_addc_co_u32_e32 v14, vcc, v16, v14, vcc
	v_mov_b32_e32 v15, s56
	v_add_co_u32_e32 v13, vcc, s55, v13
	v_addc_co_u32_e32 v14, vcc, v15, v14, vcc
	v_add_co_u32_e32 v15, vcc, v11, v6
	v_addc_co_u32_e32 v16, vcc, v12, v16, vcc
.LBB14_32:                              ;   Parent Loop BB14_9 Depth=1
                                        ; =>  This Inner Loop Header: Depth=2
	global_load_dword v6, v[13:14], off
	v_add_co_u32_e32 v13, vcc, 0x80, v13
	v_add_u32_e32 v17, 32, v17
	v_addc_co_u32_e32 v14, vcc, 0, v14, vcc
	v_cmp_ge_i32_e32 vcc, v17, v1
	s_or_b64 s[36:37], vcc, s[36:37]
	s_waitcnt vmcnt(0)
	global_store_dword v[15:16], v6, off
	v_add_co_u32_e32 v15, vcc, 0x80, v15
	v_addc_co_u32_e32 v16, vcc, 0, v16, vcc
	s_andn2_b64 exec, exec, s[36:37]
	s_cbranch_execnz .LBB14_32
.LBB14_33:                              ;   in Loop: Header=BB14_9 Depth=1
	s_or_b64 exec, exec, s[2:3]
                                        ; implicit-def: $vgpr13_vgpr14
.LBB14_34:                              ;   in Loop: Header=BB14_9 Depth=1
	s_andn2_saveexec_b64 s[4:5], s[4:5]
	s_cbranch_execz .LBB14_8
; %bb.35:                               ;   in Loop: Header=BB14_9 Depth=1
	s_and_saveexec_b64 s[36:37], s[0:1]
	s_cbranch_execz .LBB14_7
; %bb.36:                               ;   in Loop: Header=BB14_9 Depth=1
	v_mov_b32_e32 v6, s56
	v_add_co_u32_e32 v1, vcc, s55, v13
	v_addc_co_u32_e32 v6, vcc, v6, v14, vcc
	v_mov_b32_e32 v14, v12
	s_mov_b64 s[38:39], 0
	v_mov_b32_e32 v13, v11
	v_mov_b32_e32 v15, v25
.LBB14_37:                              ;   Parent Loop BB14_9 Depth=1
                                        ; =>  This Inner Loop Header: Depth=2
	v_add_co_u32_e32 v16, vcc, v1, v26
	v_addc_co_u32_e32 v17, vcc, 0, v6, vcc
	global_load_dwordx4 v[16:19], v[16:17], off
	v_add_co_u32_e32 v20, vcc, v13, v26
	v_addc_co_u32_e32 v21, vcc, 0, v14, vcc
	v_add_co_u32_e32 v13, vcc, 0x200, v13
	v_add_u32_e32 v15, 32, v15
	v_addc_co_u32_e32 v14, vcc, 0, v14, vcc
	v_add_co_u32_e32 v1, vcc, 0x200, v1
	v_cmp_le_i32_e64 s[2:3], s51, v15
	v_addc_co_u32_e32 v6, vcc, 0, v6, vcc
	s_or_b64 s[38:39], s[2:3], s[38:39]
	s_waitcnt vmcnt(0)
	global_store_dwordx4 v[20:21], v[16:19], off
	s_andn2_b64 exec, exec, s[38:39]
	s_cbranch_execnz .LBB14_37
	s_branch .LBB14_7
.LBB14_38:
	s_or_b64 exec, exec, s[26:27]
	s_mov_b64 s[0:1], 0
.LBB14_39:
	s_andn2_b64 vcc, exec, s[0:1]
	s_cbranch_vccnz .LBB14_71
; %bb.40:
	s_and_b32 s0, s46, 15
	s_mov_b32 s1, 0
	s_mul_i32 s24, s25, s24
	s_cmp_lg_u64 s[0:1], 0
	s_cselect_b64 s[2:3], -1, 0
	s_and_b32 s4, s24, 3
	s_cmp_eq_u32 s4, 0
	s_cselect_b64 s[0:1], -1, 0
	s_cmp_lg_u32 s4, 0
	s_cselect_b64 s[4:5], -1, 0
	s_or_b64 s[4:5], s[2:3], s[4:5]
	s_mov_b64 s[2:3], -1
	s_and_b64 vcc, exec, s[4:5]
	s_cbranch_vccz .LBB14_51
; %bb.41:
	s_sub_i32 s2, 0, s46
	s_bfe_u32 s2, s2, 0x20002
	s_min_i32 s2, s2, s24
	v_cmp_gt_i32_e32 vcc, s2, v0
	s_and_saveexec_b64 s[4:5], vcc
	s_cbranch_execz .LBB14_44
; %bb.42:
	v_lshlrev_b32_e32 v1, 2, v0
	v_mov_b32_e32 v2, 0
	s_lshl_b32 s3, s43, 2
	s_mov_b64 s[20:21], 0
	v_mov_b32_e32 v3, s49
	v_mov_b32_e32 v4, s47
	;; [unrolled: 1-line block ×3, first 2 shown]
.LBB14_43:                              ; =>This Inner Loop Header: Depth=1
	v_add_co_u32_e32 v6, vcc, s46, v1
	v_addc_co_u32_e32 v7, vcc, v4, v2, vcc
	global_load_dword v8, v[6:7], off
	v_add_co_u32_e32 v6, vcc, s48, v1
	v_addc_co_u32_e32 v7, vcc, v3, v2, vcc
	v_add_co_u32_e32 v1, vcc, s3, v1
	v_add_u32_e32 v5, s43, v5
	v_addc_co_u32_e32 v2, vcc, 0, v2, vcc
	v_cmp_le_i32_e32 vcc, s2, v5
	s_or_b64 s[20:21], vcc, s[20:21]
	s_waitcnt vmcnt(0)
	global_store_dword v[6:7], v8, off
	s_andn2_b64 exec, exec, s[20:21]
	s_cbranch_execnz .LBB14_43
.LBB14_44:
	s_or_b64 exec, exec, s[4:5]
	s_sub_i32 s25, s24, s2
	s_ashr_i32 s4, s25, 31
	s_lshr_b32 s4, s4, 30
	s_add_i32 s4, s25, s4
	s_ashr_i32 s26, s4, 2
	s_ashr_i32 s3, s2, 31
	v_cmp_gt_i32_e32 vcc, s26, v0
	s_and_saveexec_b64 s[4:5], vcc
	s_cbranch_execz .LBB14_47
; %bb.45:
	s_lshl_b64 s[20:21], s[2:3], 2
	s_add_u32 s27, s16, s18
	s_addc_u32 s28, s17, s19
	v_lshlrev_b32_e32 v3, 4, v0
	s_add_u32 s12, s12, s27
	s_addc_u32 s13, s13, s28
	v_add_co_u32_e32 v1, vcc, s12, v3
	s_lshl_b32 s12, s43, 4
	v_mov_b32_e32 v2, s13
	s_add_u32 s8, s8, s22
	v_addc_co_u32_e32 v2, vcc, 0, v2, vcc
	s_addc_u32 s9, s9, s23
	v_mov_b32_e32 v4, s9
	v_add_co_u32_e32 v3, vcc, s8, v3
	v_addc_co_u32_e32 v4, vcc, 0, v4, vcc
	s_mov_b64 s[8:9], 0
	v_mov_b32_e32 v5, s21
	v_mov_b32_e32 v6, v0
.LBB14_46:                              ; =>This Inner Loop Header: Depth=1
	v_add_co_u32_e32 v7, vcc, s20, v3
	v_addc_co_u32_e32 v8, vcc, v4, v5, vcc
	global_load_dwordx4 v[7:10], v[7:8], off
	v_add_co_u32_e32 v11, vcc, s20, v1
	v_addc_co_u32_e32 v12, vcc, v2, v5, vcc
	v_add_co_u32_e32 v1, vcc, s12, v1
	v_addc_co_u32_e32 v2, vcc, 0, v2, vcc
	v_add_co_u32_e32 v3, vcc, s12, v3
	v_add_u32_e32 v6, s43, v6
	v_addc_co_u32_e32 v4, vcc, 0, v4, vcc
	v_cmp_le_i32_e32 vcc, s26, v6
	s_or_b64 s[8:9], vcc, s[8:9]
	s_waitcnt vmcnt(0)
	global_store_dwordx4 v[11:12], v[7:10], off
	s_andn2_b64 exec, exec, s[8:9]
	s_cbranch_execnz .LBB14_46
.LBB14_47:
	s_or_b64 exec, exec, s[4:5]
	v_lshl_add_u32 v1, s26, 2, v0
	v_cmp_gt_i32_e32 vcc, s25, v1
	s_and_saveexec_b64 s[4:5], vcc
	s_cbranch_execz .LBB14_50
; %bb.48:
	v_ashrrev_i32_e32 v2, 31, v1
	v_lshlrev_b64 v[2:3], 2, v[1:2]
	s_lshl_b64 s[2:3], s[2:3], 2
	v_mov_b32_e32 v4, s3
	v_add_co_u32_e32 v2, vcc, s2, v2
	v_addc_co_u32_e32 v3, vcc, v4, v3, vcc
	s_lshl_b32 s8, s43, 2
	s_mov_b64 s[2:3], 0
	v_mov_b32_e32 v4, s49
	v_mov_b32_e32 v5, s47
.LBB14_49:                              ; =>This Inner Loop Header: Depth=1
	v_add_co_u32_e32 v6, vcc, s46, v2
	v_addc_co_u32_e32 v7, vcc, v5, v3, vcc
	global_load_dword v8, v[6:7], off
	v_add_co_u32_e32 v6, vcc, s48, v2
	v_addc_co_u32_e32 v7, vcc, v4, v3, vcc
	v_add_co_u32_e32 v2, vcc, s8, v2
	v_add_u32_e32 v1, s43, v1
	v_addc_co_u32_e32 v3, vcc, 0, v3, vcc
	v_cmp_le_i32_e32 vcc, s25, v1
	s_or_b64 s[2:3], vcc, s[2:3]
	s_waitcnt vmcnt(0)
	global_store_dword v[6:7], v8, off
	s_andn2_b64 exec, exec, s[2:3]
	s_cbranch_execnz .LBB14_49
.LBB14_50:
	s_or_b64 exec, exec, s[4:5]
	s_mov_b64 s[2:3], 0
.LBB14_51:
	s_and_b64 vcc, exec, s[2:3]
	s_cbranch_vccz .LBB14_56
; %bb.52:
	s_ashr_i32 s8, s24, 2
	v_cmp_gt_i32_e32 vcc, s8, v0
	s_and_saveexec_b64 s[2:3], vcc
	s_cbranch_execz .LBB14_55
; %bb.53:
	v_lshlrev_b32_e32 v1, 4, v0
	v_mov_b32_e32 v2, 0
	s_lshl_b32 s9, s43, 4
	s_mov_b64 s[4:5], 0
	v_mov_b32_e32 v3, s47
	v_mov_b32_e32 v4, s49
	;; [unrolled: 1-line block ×3, first 2 shown]
.LBB14_54:                              ; =>This Inner Loop Header: Depth=1
	v_add_co_u32_e32 v6, vcc, s46, v1
	v_addc_co_u32_e32 v7, vcc, v3, v2, vcc
	global_load_dwordx4 v[6:9], v[6:7], off
	v_add_co_u32_e32 v10, vcc, s48, v1
	v_addc_co_u32_e32 v11, vcc, v4, v2, vcc
	v_add_co_u32_e32 v1, vcc, s9, v1
	v_add_u32_e32 v5, s43, v5
	v_addc_co_u32_e32 v2, vcc, 0, v2, vcc
	v_cmp_le_i32_e32 vcc, s8, v5
	s_or_b64 s[4:5], vcc, s[4:5]
	s_waitcnt vmcnt(0)
	global_store_dwordx4 v[10:11], v[6:9], off
	s_andn2_b64 exec, exec, s[4:5]
	s_cbranch_execnz .LBB14_54
.LBB14_55:
	s_or_b64 exec, exec, s[2:3]
.LBB14_56:
	s_and_b32 s2, s33, 15
	s_mov_b32 s3, 0
	s_cmp_lg_u64 s[2:3], 0
	s_cselect_b64 s[4:5], -1, 0
	s_xor_b64 s[0:1], s[0:1], -1
	s_or_b64 s[0:1], s[0:1], s[4:5]
	s_mov_b64 s[2:3], -1
	s_and_b64 vcc, exec, s[0:1]
	s_cbranch_vccz .LBB14_67
; %bb.57:
	s_sub_i32 s0, 0, s33
	s_bfe_u32 s0, s0, 0x20002
	s_min_i32 s0, s0, s24
	v_cmp_gt_i32_e32 vcc, s0, v0
	s_and_saveexec_b64 s[2:3], vcc
	s_cbranch_execz .LBB14_60
; %bb.58:
	v_lshlrev_b32_e32 v1, 2, v0
	v_mov_b32_e32 v2, 0
	s_lshl_b32 s1, s43, 2
	s_mov_b64 s[4:5], 0
	v_mov_b32_e32 v3, s45
	v_mov_b32_e32 v4, s44
	v_mov_b32_e32 v5, v0
.LBB14_59:                              ; =>This Inner Loop Header: Depth=1
	v_add_co_u32_e32 v6, vcc, s33, v1
	v_addc_co_u32_e32 v7, vcc, v4, v2, vcc
	global_load_dword v8, v[6:7], off
	v_add_co_u32_e32 v6, vcc, s42, v1
	v_addc_co_u32_e32 v7, vcc, v3, v2, vcc
	v_add_co_u32_e32 v1, vcc, s1, v1
	v_add_u32_e32 v5, s43, v5
	v_addc_co_u32_e32 v2, vcc, 0, v2, vcc
	v_cmp_le_i32_e32 vcc, s0, v5
	s_or_b64 s[4:5], vcc, s[4:5]
	s_waitcnt vmcnt(0)
	global_store_dword v[6:7], v8, off
	s_andn2_b64 exec, exec, s[4:5]
	s_cbranch_execnz .LBB14_59
.LBB14_60:
	s_or_b64 exec, exec, s[2:3]
	s_sub_i32 s8, s24, s0
	s_ashr_i32 s2, s8, 31
	s_lshr_b32 s2, s2, 30
	s_add_i32 s2, s8, s2
	s_ashr_i32 s9, s2, 2
	s_ashr_i32 s1, s0, 31
	v_cmp_gt_i32_e32 vcc, s9, v0
	s_and_saveexec_b64 s[2:3], vcc
	s_cbranch_execz .LBB14_63
; %bb.61:
	s_lshl_b64 s[4:5], s[0:1], 2
	s_add_u32 s12, s16, s18
	s_addc_u32 s13, s17, s19
	v_lshlrev_b32_e32 v3, 4, v0
	s_add_u32 s12, s14, s12
	s_addc_u32 s13, s15, s13
	v_add_co_u32_e32 v1, vcc, s12, v3
	s_lshl_b32 s12, s43, 4
	v_mov_b32_e32 v2, s13
	s_add_u32 s6, s10, s6
	v_addc_co_u32_e32 v2, vcc, 0, v2, vcc
	s_addc_u32 s7, s11, s7
	v_mov_b32_e32 v4, s7
	v_add_co_u32_e32 v3, vcc, s6, v3
	v_addc_co_u32_e32 v4, vcc, 0, v4, vcc
	s_mov_b64 s[6:7], 0
	v_mov_b32_e32 v5, s5
	v_mov_b32_e32 v6, v0
.LBB14_62:                              ; =>This Inner Loop Header: Depth=1
	v_add_co_u32_e32 v7, vcc, s4, v3
	v_addc_co_u32_e32 v8, vcc, v4, v5, vcc
	global_load_dwordx4 v[7:10], v[7:8], off
	v_add_co_u32_e32 v11, vcc, s4, v1
	v_addc_co_u32_e32 v12, vcc, v2, v5, vcc
	v_add_co_u32_e32 v1, vcc, s12, v1
	v_addc_co_u32_e32 v2, vcc, 0, v2, vcc
	v_add_co_u32_e32 v3, vcc, s12, v3
	v_add_u32_e32 v6, s43, v6
	v_addc_co_u32_e32 v4, vcc, 0, v4, vcc
	v_cmp_le_i32_e32 vcc, s9, v6
	s_or_b64 s[6:7], vcc, s[6:7]
	s_waitcnt vmcnt(0)
	global_store_dwordx4 v[11:12], v[7:10], off
	s_andn2_b64 exec, exec, s[6:7]
	s_cbranch_execnz .LBB14_62
.LBB14_63:
	s_or_b64 exec, exec, s[2:3]
	v_lshl_add_u32 v1, s9, 2, v0
	v_cmp_gt_i32_e32 vcc, s8, v1
	s_and_saveexec_b64 s[2:3], vcc
	s_cbranch_execz .LBB14_66
; %bb.64:
	v_ashrrev_i32_e32 v2, 31, v1
	v_lshlrev_b64 v[2:3], 2, v[1:2]
	s_lshl_b64 s[0:1], s[0:1], 2
	v_mov_b32_e32 v4, s1
	v_add_co_u32_e32 v2, vcc, s0, v2
	v_addc_co_u32_e32 v3, vcc, v4, v3, vcc
	s_lshl_b32 s4, s43, 2
	s_mov_b64 s[0:1], 0
	v_mov_b32_e32 v4, s45
	v_mov_b32_e32 v5, s44
.LBB14_65:                              ; =>This Inner Loop Header: Depth=1
	v_add_co_u32_e32 v6, vcc, s33, v2
	v_addc_co_u32_e32 v7, vcc, v5, v3, vcc
	global_load_dword v8, v[6:7], off
	v_add_co_u32_e32 v6, vcc, s42, v2
	v_addc_co_u32_e32 v7, vcc, v4, v3, vcc
	v_add_co_u32_e32 v2, vcc, s4, v2
	v_add_u32_e32 v1, s43, v1
	v_addc_co_u32_e32 v3, vcc, 0, v3, vcc
	v_cmp_le_i32_e32 vcc, s8, v1
	s_or_b64 s[0:1], vcc, s[0:1]
	s_waitcnt vmcnt(0)
	global_store_dword v[6:7], v8, off
	s_andn2_b64 exec, exec, s[0:1]
	s_cbranch_execnz .LBB14_65
.LBB14_66:
	s_or_b64 exec, exec, s[2:3]
	s_mov_b64 s[2:3], 0
.LBB14_67:
	s_and_b64 vcc, exec, s[2:3]
	s_cbranch_vccz .LBB14_71
; %bb.68:
	s_ashr_i32 s2, s24, 2
	v_cmp_gt_i32_e32 vcc, s2, v0
	s_and_saveexec_b64 s[0:1], vcc
	s_cbranch_execz .LBB14_71
; %bb.69:
	v_lshlrev_b32_e32 v1, 4, v0
	v_mov_b32_e32 v2, 0
	s_lshl_b32 s3, s43, 4
	s_mov_b64 s[0:1], 0
	v_mov_b32_e32 v3, s44
	v_mov_b32_e32 v4, s45
.LBB14_70:                              ; =>This Inner Loop Header: Depth=1
	v_add_co_u32_e32 v5, vcc, s33, v1
	v_addc_co_u32_e32 v6, vcc, v3, v2, vcc
	global_load_dwordx4 v[5:8], v[5:6], off
	v_add_co_u32_e32 v9, vcc, s42, v1
	v_addc_co_u32_e32 v10, vcc, v4, v2, vcc
	v_add_co_u32_e32 v1, vcc, s3, v1
	v_add_u32_e32 v0, s43, v0
	v_addc_co_u32_e32 v2, vcc, 0, v2, vcc
	v_cmp_le_i32_e32 vcc, s2, v0
	s_or_b64 s[0:1], vcc, s[0:1]
	s_waitcnt vmcnt(0)
	global_store_dwordx4 v[9:10], v[5:8], off
	s_andn2_b64 exec, exec, s[0:1]
	s_cbranch_execnz .LBB14_70
.LBB14_71:
	s_endpgm
.LBB14_72:
                                        ; implicit-def: $sgpr2_sgpr3
	s_branch .LBB14_3
	.section	.rodata,"a",@progbits
	.p2align	6, 0x0
	.amdhsa_kernel _ZN4vllm30reshape_and_cache_flash_kernelIffLNS_18Fp8KVCacheDataTypeE0EEEvPKT_S4_PT0_S6_PKlllllliiiPKfSA_
		.amdhsa_group_segment_fixed_size 0
		.amdhsa_private_segment_fixed_size 0
		.amdhsa_kernarg_size 368
		.amdhsa_user_sgpr_count 6
		.amdhsa_user_sgpr_private_segment_buffer 1
		.amdhsa_user_sgpr_dispatch_ptr 0
		.amdhsa_user_sgpr_queue_ptr 0
		.amdhsa_user_sgpr_kernarg_segment_ptr 1
		.amdhsa_user_sgpr_dispatch_id 0
		.amdhsa_user_sgpr_flat_scratch_init 0
		.amdhsa_user_sgpr_private_segment_size 0
		.amdhsa_uses_dynamic_stack 0
		.amdhsa_system_sgpr_private_segment_wavefront_offset 0
		.amdhsa_system_sgpr_workgroup_id_x 1
		.amdhsa_system_sgpr_workgroup_id_y 0
		.amdhsa_system_sgpr_workgroup_id_z 0
		.amdhsa_system_sgpr_workgroup_info 0
		.amdhsa_system_vgpr_workitem_id 0
		.amdhsa_next_free_vgpr 39
		.amdhsa_next_free_sgpr 57
		.amdhsa_reserve_vcc 1
		.amdhsa_reserve_flat_scratch 0
		.amdhsa_float_round_mode_32 0
		.amdhsa_float_round_mode_16_64 0
		.amdhsa_float_denorm_mode_32 3
		.amdhsa_float_denorm_mode_16_64 3
		.amdhsa_dx10_clamp 1
		.amdhsa_ieee_mode 1
		.amdhsa_fp16_overflow 0
		.amdhsa_exception_fp_ieee_invalid_op 0
		.amdhsa_exception_fp_denorm_src 0
		.amdhsa_exception_fp_ieee_div_zero 0
		.amdhsa_exception_fp_ieee_overflow 0
		.amdhsa_exception_fp_ieee_underflow 0
		.amdhsa_exception_fp_ieee_inexact 0
		.amdhsa_exception_int_div_zero 0
	.end_amdhsa_kernel
	.section	.text._ZN4vllm30reshape_and_cache_flash_kernelIffLNS_18Fp8KVCacheDataTypeE0EEEvPKT_S4_PT0_S6_PKlllllliiiPKfSA_,"axG",@progbits,_ZN4vllm30reshape_and_cache_flash_kernelIffLNS_18Fp8KVCacheDataTypeE0EEEvPKT_S4_PT0_S6_PKlllllliiiPKfSA_,comdat
.Lfunc_end14:
	.size	_ZN4vllm30reshape_and_cache_flash_kernelIffLNS_18Fp8KVCacheDataTypeE0EEEvPKT_S4_PT0_S6_PKlllllliiiPKfSA_, .Lfunc_end14-_ZN4vllm30reshape_and_cache_flash_kernelIffLNS_18Fp8KVCacheDataTypeE0EEEvPKT_S4_PT0_S6_PKlllllliiiPKfSA_
                                        ; -- End function
	.set _ZN4vllm30reshape_and_cache_flash_kernelIffLNS_18Fp8KVCacheDataTypeE0EEEvPKT_S4_PT0_S6_PKlllllliiiPKfSA_.num_vgpr, 39
	.set _ZN4vllm30reshape_and_cache_flash_kernelIffLNS_18Fp8KVCacheDataTypeE0EEEvPKT_S4_PT0_S6_PKlllllliiiPKfSA_.num_agpr, 0
	.set _ZN4vllm30reshape_and_cache_flash_kernelIffLNS_18Fp8KVCacheDataTypeE0EEEvPKT_S4_PT0_S6_PKlllllliiiPKfSA_.numbered_sgpr, 57
	.set _ZN4vllm30reshape_and_cache_flash_kernelIffLNS_18Fp8KVCacheDataTypeE0EEEvPKT_S4_PT0_S6_PKlllllliiiPKfSA_.num_named_barrier, 0
	.set _ZN4vllm30reshape_and_cache_flash_kernelIffLNS_18Fp8KVCacheDataTypeE0EEEvPKT_S4_PT0_S6_PKlllllliiiPKfSA_.private_seg_size, 0
	.set _ZN4vllm30reshape_and_cache_flash_kernelIffLNS_18Fp8KVCacheDataTypeE0EEEvPKT_S4_PT0_S6_PKlllllliiiPKfSA_.uses_vcc, 1
	.set _ZN4vllm30reshape_and_cache_flash_kernelIffLNS_18Fp8KVCacheDataTypeE0EEEvPKT_S4_PT0_S6_PKlllllliiiPKfSA_.uses_flat_scratch, 0
	.set _ZN4vllm30reshape_and_cache_flash_kernelIffLNS_18Fp8KVCacheDataTypeE0EEEvPKT_S4_PT0_S6_PKlllllliiiPKfSA_.has_dyn_sized_stack, 0
	.set _ZN4vllm30reshape_and_cache_flash_kernelIffLNS_18Fp8KVCacheDataTypeE0EEEvPKT_S4_PT0_S6_PKlllllliiiPKfSA_.has_recursion, 0
	.set _ZN4vllm30reshape_and_cache_flash_kernelIffLNS_18Fp8KVCacheDataTypeE0EEEvPKT_S4_PT0_S6_PKlllllliiiPKfSA_.has_indirect_call, 0
	.section	.AMDGPU.csdata,"",@progbits
; Kernel info:
; codeLenInByte = 3704
; TotalNumSgprs: 61
; NumVgprs: 39
; ScratchSize: 0
; MemoryBound: 0
; FloatMode: 240
; IeeeMode: 1
; LDSByteSize: 0 bytes/workgroup (compile time only)
; SGPRBlocks: 7
; VGPRBlocks: 9
; NumSGPRsForWavesPerEU: 61
; NumVGPRsForWavesPerEU: 39
; Occupancy: 6
; WaveLimiterHint : 1
; COMPUTE_PGM_RSRC2:SCRATCH_EN: 0
; COMPUTE_PGM_RSRC2:USER_SGPR: 6
; COMPUTE_PGM_RSRC2:TRAP_HANDLER: 0
; COMPUTE_PGM_RSRC2:TGID_X_EN: 1
; COMPUTE_PGM_RSRC2:TGID_Y_EN: 0
; COMPUTE_PGM_RSRC2:TGID_Z_EN: 0
; COMPUTE_PGM_RSRC2:TIDIG_COMP_CNT: 0
	.section	.text._ZN4vllm30reshape_and_cache_flash_kernelIttLNS_18Fp8KVCacheDataTypeE0EEEvPKT_S4_PT0_S6_PKlllllliiiPKfSA_,"axG",@progbits,_ZN4vllm30reshape_and_cache_flash_kernelIttLNS_18Fp8KVCacheDataTypeE0EEEvPKT_S4_PT0_S6_PKlllllliiiPKfSA_,comdat
	.protected	_ZN4vllm30reshape_and_cache_flash_kernelIttLNS_18Fp8KVCacheDataTypeE0EEEvPKT_S4_PT0_S6_PKlllllliiiPKfSA_ ; -- Begin function _ZN4vllm30reshape_and_cache_flash_kernelIttLNS_18Fp8KVCacheDataTypeE0EEEvPKT_S4_PT0_S6_PKlllllliiiPKfSA_
	.globl	_ZN4vllm30reshape_and_cache_flash_kernelIttLNS_18Fp8KVCacheDataTypeE0EEEvPKT_S4_PT0_S6_PKlllllliiiPKfSA_
	.p2align	8
	.type	_ZN4vllm30reshape_and_cache_flash_kernelIttLNS_18Fp8KVCacheDataTypeE0EEEvPKT_S4_PT0_S6_PKlllllliiiPKfSA_,@function
_ZN4vllm30reshape_and_cache_flash_kernelIttLNS_18Fp8KVCacheDataTypeE0EEEvPKT_S4_PT0_S6_PKlllllliiiPKfSA_: ; @_ZN4vllm30reshape_and_cache_flash_kernelIttLNS_18Fp8KVCacheDataTypeE0EEEvPKT_S4_PT0_S6_PKlllllliiiPKfSA_
; %bb.0:
	s_load_dwordx2 s[0:1], s[4:5], 0x20
	s_mov_b32 s7, 0
	s_lshl_b64 s[2:3], s[6:7], 3
	s_waitcnt lgkmcnt(0)
	s_add_u32 s0, s0, s2
	s_addc_u32 s1, s1, s3
	s_load_dwordx2 s[0:1], s[0:1], 0x0
	s_waitcnt lgkmcnt(0)
	v_cmp_lt_i64_e64 s[2:3], s[0:1], 0
	s_and_b64 vcc, exec, s[2:3]
	s_cbranch_vccnz .LBB15_139
; %bb.1:
	s_load_dwordx4 s[24:27], s[4:5], 0x50
	s_load_dwordx8 s[8:15], s[4:5], 0x0
	s_waitcnt lgkmcnt(0)
	s_ashr_i32 s27, s26, 31
	s_or_b64 s[2:3], s[0:1], s[26:27]
	s_mov_b32 s2, s7
	s_cmp_lg_u64 s[2:3], 0
	s_cbranch_scc0 .LBB15_140
; %bb.2:
	s_ashr_i32 s2, s27, 31
	s_add_u32 s16, s26, s2
	s_mov_b32 s3, s2
	s_addc_u32 s17, s27, s2
	s_xor_b64 s[18:19], s[16:17], s[2:3]
	v_cvt_f32_u32_e32 v1, s18
	v_cvt_f32_u32_e32 v2, s19
	s_sub_u32 s7, 0, s18
	s_subb_u32 s22, 0, s19
	v_madmk_f32 v1, v2, 0x4f800000, v1
	v_rcp_f32_e32 v1, v1
	v_mul_f32_e32 v1, 0x5f7ffffc, v1
	v_mul_f32_e32 v2, 0x2f800000, v1
	v_trunc_f32_e32 v2, v2
	v_madmk_f32 v1, v2, 0xcf800000, v1
	v_cvt_u32_f32_e32 v2, v2
	v_cvt_u32_f32_e32 v1, v1
	v_readfirstlane_b32 s23, v2
	v_readfirstlane_b32 s20, v1
	s_mul_i32 s21, s7, s23
	s_mul_hi_u32 s29, s7, s20
	s_mul_i32 s28, s22, s20
	s_add_i32 s21, s29, s21
	s_add_i32 s21, s21, s28
	s_mul_i32 s30, s7, s20
	s_mul_i32 s29, s20, s21
	s_mul_hi_u32 s31, s20, s30
	s_mul_hi_u32 s28, s20, s21
	s_add_u32 s29, s31, s29
	s_addc_u32 s28, 0, s28
	s_mul_hi_u32 s33, s23, s30
	s_mul_i32 s30, s23, s30
	s_add_u32 s29, s29, s30
	s_mul_hi_u32 s31, s23, s21
	s_addc_u32 s28, s28, s33
	s_addc_u32 s29, s31, 0
	s_mul_i32 s21, s23, s21
	s_add_u32 s21, s28, s21
	s_addc_u32 s28, 0, s29
	s_add_u32 s29, s20, s21
	s_cselect_b64 s[20:21], -1, 0
	s_cmp_lg_u64 s[20:21], 0
	s_addc_u32 s23, s23, s28
	s_mul_i32 s20, s7, s23
	s_mul_hi_u32 s21, s7, s29
	s_add_i32 s20, s21, s20
	s_mul_i32 s22, s22, s29
	s_add_i32 s20, s20, s22
	s_mul_i32 s7, s7, s29
	s_mul_hi_u32 s22, s23, s7
	s_mul_i32 s28, s23, s7
	s_mul_i32 s31, s29, s20
	s_mul_hi_u32 s7, s29, s7
	s_mul_hi_u32 s30, s29, s20
	s_add_u32 s7, s7, s31
	s_addc_u32 s30, 0, s30
	s_add_u32 s7, s7, s28
	s_mul_hi_u32 s21, s23, s20
	s_addc_u32 s7, s30, s22
	s_addc_u32 s21, s21, 0
	s_mul_i32 s20, s23, s20
	s_add_u32 s7, s7, s20
	s_addc_u32 s22, 0, s21
	s_add_u32 s7, s29, s7
	s_cselect_b64 s[20:21], -1, 0
	s_cmp_lg_u64 s[20:21], 0
	s_addc_u32 s28, s23, s22
	s_ashr_i32 s20, s1, 31
	s_add_u32 s22, s0, s20
	s_mov_b32 s21, s20
	s_addc_u32 s23, s1, s20
	s_xor_b64 s[22:23], s[22:23], s[20:21]
	s_mul_i32 s30, s22, s28
	s_mul_hi_u32 s31, s22, s7
	s_mul_hi_u32 s29, s22, s28
	s_add_u32 s30, s31, s30
	s_addc_u32 s29, 0, s29
	s_mul_hi_u32 s33, s23, s7
	s_mul_i32 s7, s23, s7
	s_add_u32 s7, s30, s7
	s_mul_hi_u32 s31, s23, s28
	s_addc_u32 s7, s29, s33
	s_addc_u32 s29, s31, 0
	s_mul_i32 s28, s23, s28
	s_add_u32 s7, s7, s28
	s_addc_u32 s33, 0, s29
	s_mul_i32 s28, s18, s33
	s_mul_hi_u32 s29, s18, s7
	s_add_i32 s28, s29, s28
	s_mul_i32 s29, s19, s7
	s_add_i32 s34, s28, s29
	s_sub_i32 s30, s23, s34
	s_mul_i32 s28, s18, s7
	s_sub_u32 s22, s22, s28
	s_cselect_b64 s[28:29], -1, 0
	s_cmp_lg_u64 s[28:29], 0
	s_subb_u32 s35, s30, s19
	s_sub_u32 s36, s22, s18
	s_cselect_b64 s[30:31], -1, 0
	s_cmp_lg_u64 s[30:31], 0
	s_subb_u32 s30, s35, 0
	s_cmp_ge_u32 s30, s19
	s_cselect_b32 s31, -1, 0
	s_cmp_ge_u32 s36, s18
	s_cselect_b32 s35, -1, 0
	s_cmp_eq_u32 s30, s19
	s_cselect_b32 s30, s35, s31
	s_add_u32 s31, s7, 1
	s_addc_u32 s35, s33, 0
	s_add_u32 s36, s7, 2
	s_addc_u32 s37, s33, 0
	s_cmp_lg_u32 s30, 0
	s_cselect_b32 s30, s36, s31
	s_cselect_b32 s31, s37, s35
	s_cmp_lg_u64 s[28:29], 0
	s_subb_u32 s23, s23, s34
	s_cmp_ge_u32 s23, s19
	s_cselect_b32 s28, -1, 0
	s_cmp_ge_u32 s22, s18
	s_cselect_b32 s18, -1, 0
	s_cmp_eq_u32 s23, s19
	s_cselect_b32 s18, s18, s28
	s_cmp_lg_u32 s18, 0
	s_cselect_b32 s19, s31, s33
	s_cselect_b32 s18, s30, s7
	s_xor_b64 s[2:3], s[20:21], s[2:3]
	s_xor_b64 s[18:19], s[18:19], s[2:3]
	s_sub_u32 s2, s18, s2
	s_subb_u32 s3, s19, s3
	s_cbranch_execnz .LBB15_4
.LBB15_3:
	v_cvt_f32_u32_e32 v1, s26
	s_sub_i32 s2, 0, s26
	s_mov_b32 s3, 0
	v_rcp_iflag_f32_e32 v1, v1
	v_mul_f32_e32 v1, 0x4f7ffffe, v1
	v_cvt_u32_f32_e32 v1, v1
	v_readfirstlane_b32 s7, v1
	s_mul_i32 s2, s2, s7
	s_mul_hi_u32 s2, s7, s2
	s_add_i32 s7, s7, s2
	s_mul_hi_u32 s2, s0, s7
	s_mul_i32 s16, s2, s26
	s_sub_i32 s16, s0, s16
	s_add_i32 s7, s2, 1
	s_sub_i32 s17, s16, s26
	s_cmp_ge_u32 s16, s26
	s_cselect_b32 s2, s7, s2
	s_cselect_b32 s16, s17, s16
	s_add_i32 s7, s2, 1
	s_cmp_ge_u32 s16, s26
	s_cselect_b32 s2, s7, s2
.LBB15_4:
	s_load_dwordx8 s[16:23], s[4:5], 0x28
	s_load_dwordx2 s[28:29], s[4:5], 0x48
	s_mul_i32 s7, s2, s27
	s_mul_hi_u32 s27, s2, s26
	s_add_i32 s7, s27, s7
	s_mul_i32 s27, s3, s26
	s_add_i32 s7, s7, s27
	s_mul_i32 s26, s2, s26
	s_sub_u32 s30, s0, s26
	s_subb_u32 s7, s1, s7
	s_waitcnt lgkmcnt(0)
	s_mul_i32 s0, s23, s6
	s_mul_hi_u32 s1, s22, s6
	s_add_i32 s1, s1, s0
	s_mul_i32 s0, s22, s6
	s_lshl_b64 s[26:27], s[0:1], 1
	s_add_u32 s50, s8, s26
	s_mul_i32 s0, s29, s6
	s_mul_hi_u32 s1, s28, s6
	s_addc_u32 s51, s9, s27
	s_add_i32 s1, s1, s0
	s_mul_i32 s0, s28, s6
	s_lshl_b64 s[22:23], s[0:1], 1
	s_add_u32 s33, s10, s22
	s_mul_i32 s0, s2, s17
	s_mul_hi_u32 s1, s2, s16
	s_addc_u32 s48, s11, s23
	s_add_i32 s0, s1, s0
	s_mul_i32 s1, s3, s16
	s_add_i32 s1, s0, s1
	s_mul_i32 s0, s2, s16
	s_lshl_b64 s[16:17], s[0:1], 1
	s_add_u32 s2, s12, s16
	s_mul_i32 s0, s30, s19
	s_mul_hi_u32 s1, s30, s18
	s_addc_u32 s3, s13, s17
	s_add_i32 s0, s1, s0
	s_mul_i32 s7, s7, s18
	s_add_i32 s1, s0, s7
	s_mul_i32 s0, s30, s18
	s_lshl_b64 s[18:19], s[0:1], 1
	s_load_dword s4, s[4:5], 0x7c
	s_add_u32 s52, s2, s18
	s_addc_u32 s53, s3, s19
	s_add_u32 s0, s14, s16
	s_addc_u32 s1, s15, s17
	;; [unrolled: 2-line block ×3, first 2 shown]
	s_ashr_i32 s1, s25, 31
	s_mov_b32 s0, s25
	s_waitcnt lgkmcnt(0)
	s_and_b32 s47, s4, 0xffff
	s_cmp_lg_u64 s[20:21], s[0:1]
	s_mov_b64 s[0:1], -1
	s_cbranch_scc0 .LBB15_77
; %bb.5:
	v_lshrrev_b32_e32 v27, 5, v0
	v_cmp_gt_i32_e32 vcc, s24, v27
	s_and_saveexec_b64 s[28:29], vcc
	s_cbranch_execz .LBB15_76
; %bb.6:
	s_lshr_b32 s54, s47, 5
	s_and_b32 s0, s25, 7
	v_mad_u64_u32 v[8:9], s[2:3], s20, v27, 0
	v_and_b32_e32 v1, 31, v0
	s_cmp_eq_u32 s0, 0
	s_cselect_b64 s[6:7], -1, 0
	s_ashr_i32 s55, s25, 3
	v_not_b32_e32 v28, v1
	v_add_u32_e32 v3, s55, v28
	v_mov_b32_e32 v4, 0
	v_lshrrev_b32_e32 v5, 5, v3
	v_cmp_lt_u32_e64 s[2:3], 31, v3
	v_mov_b32_e32 v3, v9
	v_mad_u64_u32 v[9:10], s[4:5], s21, v27, v[3:4]
	s_add_u32 s30, s18, s16
	s_addc_u32 s31, s19, s17
	v_lshlrev_b64 v[8:9], 1, v[8:9]
	v_mov_b32_e32 v3, s31
	v_add_co_u32_e32 v8, vcc, s30, v8
	s_mul_i32 s30, s21, s54
	s_mul_hi_u32 s31, s20, s54
	s_add_i32 s31, s31, s30
	s_mul_i32 s30, s20, s54
	v_addc_co_u32_e32 v3, vcc, v3, v9, vcc
	s_lshl_b64 s[30:31], s[30:31], 1
	v_add_u32_e32 v11, 1, v5
	v_mov_b32_e32 v10, s13
	v_add_co_u32_e32 v9, vcc, s12, v8
	s_add_u32 s56, s8, s26
	v_mul_lo_u32 v13, s25, v27
	v_and_b32_e32 v29, 0xffffffe, v11
	v_addc_co_u32_e32 v10, vcc, v10, v3, vcc
	s_addc_u32 s57, s9, s27
	v_cmp_ne_u32_e64 s[4:5], v11, v29
	v_mov_b32_e32 v12, s15
	v_add_co_u32_e32 v11, vcc, s14, v8
	s_add_u32 s59, s10, s22
	v_cmp_gt_i32_e64 s[0:1], s55, v1
	v_mov_b32_e32 v2, v4
	v_or_b32_e32 v6, 32, v1
	v_mov_b32_e32 v5, v1
	v_lshl_or_b32 v7, v29, 5, v1
	v_addc_co_u32_e32 v12, vcc, v12, v3, vcc
	s_mul_i32 s58, s25, s54
	s_addc_u32 s60, s11, s23
	s_mov_b64 s[34:35], 0
	s_xor_b64 s[36:37], s[6:7], -1
	s_movk_i32 s61, 0x5f
	v_mov_b32_e32 v30, s57
	v_mov_b32_e32 v31, s51
	s_branch .LBB15_9
.LBB15_7:                               ;   in Loop: Header=BB15_9 Depth=1
	s_or_b64 exec, exec, s[40:41]
.LBB15_8:                               ;   in Loop: Header=BB15_9 Depth=1
	s_or_b64 exec, exec, s[38:39]
	v_mov_b32_e32 v3, s31
	v_add_co_u32_e32 v9, vcc, s30, v9
	v_add_u32_e32 v27, s54, v27
	v_addc_co_u32_e32 v10, vcc, v10, v3, vcc
	v_cmp_le_i32_e32 vcc, s24, v27
	s_or_b64 s[34:35], vcc, s[34:35]
	v_add_co_u32_e32 v11, vcc, s30, v11
	v_add_u32_e32 v13, s58, v13
	v_addc_co_u32_e32 v12, vcc, v12, v3, vcc
	s_andn2_b64 exec, exec, s[34:35]
	s_cbranch_execz .LBB15_76
.LBB15_9:                               ; =>This Loop Header: Depth=1
                                        ;     Child Loop BB15_15 Depth 2
                                        ;     Child Loop BB15_21 Depth 2
	;; [unrolled: 1-line block ×12, first 2 shown]
	v_mul_lo_u32 v16, v27, s25
	v_mad_u64_u32 v[22:23], s[6:7], s20, v27, 0
	v_ashrrev_i32_e32 v14, 31, v13
	v_ashrrev_i32_e32 v17, 31, v16
	v_mov_b32_e32 v3, v23
	v_lshlrev_b64 v[18:19], 1, v[16:17]
	v_mad_u64_u32 v[16:17], s[6:7], s21, v27, v[3:4]
	v_lshlrev_b64 v[14:15], 1, v[13:14]
	v_add_co_u32_e32 v20, vcc, s56, v14
	v_addc_co_u32_e32 v21, vcc, v30, v15, vcc
	v_mov_b32_e32 v23, v16
	v_add_co_u32_e32 v8, vcc, s50, v18
	v_lshlrev_b64 v[16:17], 1, v[22:23]
	v_addc_co_u32_e32 v26, vcc, v31, v19, vcc
	v_and_b32_e32 v3, 15, v8
	v_mov_b32_e32 v22, s53
	v_cmp_ne_u64_e32 vcc, 0, v[3:4]
	v_add_co_u32_e64 v34, s[6:7], s52, v16
	v_addc_co_u32_e64 v35, s[6:7], v22, v17, s[6:7]
	s_or_b64 s[6:7], s[36:37], vcc
	s_and_saveexec_b64 s[38:39], s[6:7]
	s_xor_b64 s[38:39], exec, s[38:39]
	s_cbranch_execz .LBB15_31
; %bb.10:                               ;   in Loop: Header=BB15_9 Depth=1
	v_sub_u32_e32 v3, 0, v8
	v_bfe_u32 v3, v3, 1, 3
	v_min_i32_e32 v24, s25, v3
	v_cmp_lt_i32_e32 vcc, v1, v24
	s_and_saveexec_b64 s[6:7], vcc
	s_cbranch_execz .LBB15_12
; %bb.11:                               ;   in Loop: Header=BB15_9 Depth=1
	v_lshlrev_b32_e32 v3, 1, v1
	v_add_co_u32_e32 v22, vcc, v8, v3
	v_addc_co_u32_e32 v23, vcc, 0, v26, vcc
	global_load_ushort v25, v[22:23], off
	v_add_co_u32_e32 v22, vcc, v34, v3
	v_addc_co_u32_e32 v23, vcc, 0, v35, vcc
	s_waitcnt vmcnt(0)
	global_store_short v[22:23], v25, off
.LBB15_12:                              ;   in Loop: Header=BB15_9 Depth=1
	s_or_b64 exec, exec, s[6:7]
	v_ashrrev_i32_e32 v25, 31, v24
	v_lshlrev_b64 v[22:23], 1, v[24:25]
	v_add_co_u32_e32 v32, vcc, v8, v22
	v_sub_u32_e32 v8, s25, v24
	v_ashrrev_i32_e32 v3, 31, v8
	v_addc_co_u32_e32 v33, vcc, v26, v23, vcc
	v_lshrrev_b32_e32 v3, 29, v3
	v_add_co_u32_e32 v34, vcc, v34, v22
	v_add_u32_e32 v3, v8, v3
	v_addc_co_u32_e32 v35, vcc, v35, v23, vcc
	v_ashrrev_i32_e32 v26, 3, v3
	v_cmp_lt_i32_e32 vcc, v1, v26
	s_and_saveexec_b64 s[40:41], vcc
	s_cbranch_execz .LBB15_22
; %bb.13:                               ;   in Loop: Header=BB15_9 Depth=1
	v_add_u32_e32 v36, v26, v28
	v_mov_b32_e32 v25, v2
	v_cmp_lt_u32_e32 vcc, 31, v36
	s_mov_b64 s[42:43], -1
	v_mov_b32_e32 v3, v1
	v_mov_b32_e32 v24, v1
	s_and_saveexec_b64 s[6:7], vcc
	s_cbranch_execz .LBB15_19
; %bb.14:                               ;   in Loop: Header=BB15_9 Depth=1
	v_lshrrev_b32_e32 v3, 5, v36
	v_add_u32_e32 v37, 1, v3
	v_and_b32_e32 v36, 0xffffffe, v37
	v_mov_b32_e32 v25, v6
	s_mov_b64 s[42:43], 0
	v_mov_b32_e32 v38, v36
	v_mov_b32_e32 v24, v5
.LBB15_15:                              ;   Parent Loop BB15_9 Depth=1
                                        ; =>  This Inner Loop Header: Depth=2
	v_mov_b32_e32 v3, v24
	v_lshlrev_b64 v[47:48], 4, v[3:4]
	v_mov_b32_e32 v3, v25
	v_lshlrev_b64 v[49:50], 4, v[3:4]
	v_add_co_u32_e32 v39, vcc, v32, v47
	v_addc_co_u32_e32 v40, vcc, v33, v48, vcc
	v_add_co_u32_e32 v43, vcc, v32, v49
	v_addc_co_u32_e32 v44, vcc, v33, v50, vcc
	global_load_dwordx4 v[39:42], v[39:40], off
	s_nop 0
	global_load_dwordx4 v[43:46], v[43:44], off
	v_add_u32_e32 v38, -2, v38
	v_cmp_eq_u32_e32 vcc, 0, v38
	s_or_b64 s[42:43], vcc, s[42:43]
	v_add_co_u32_e32 v47, vcc, v34, v47
	v_addc_co_u32_e32 v48, vcc, v35, v48, vcc
	v_add_u32_e32 v24, 64, v24
	v_add_u32_e32 v25, 64, v25
	v_add_co_u32_e32 v49, vcc, v34, v49
	v_addc_co_u32_e32 v50, vcc, v35, v50, vcc
	s_waitcnt vmcnt(1)
	global_store_dwordx4 v[47:48], v[39:42], off
	s_waitcnt vmcnt(1)
	global_store_dwordx4 v[49:50], v[43:46], off
	s_andn2_b64 exec, exec, s[42:43]
	s_cbranch_execnz .LBB15_15
; %bb.16:                               ;   in Loop: Header=BB15_9 Depth=1
	s_or_b64 exec, exec, s[42:43]
	v_cmp_ne_u32_e32 vcc, v37, v36
	s_mov_b64 s[42:43], 0
                                        ; implicit-def: $vgpr24_vgpr25
	s_and_saveexec_b64 s[44:45], vcc
; %bb.17:                               ;   in Loop: Header=BB15_9 Depth=1
	v_lshl_or_b32 v3, v36, 5, v1
	v_mov_b32_e32 v25, v4
	s_mov_b64 s[42:43], exec
	v_mov_b32_e32 v24, v3
; %bb.18:                               ;   in Loop: Header=BB15_9 Depth=1
	s_or_b64 exec, exec, s[44:45]
	s_orn2_b64 s[42:43], s[42:43], exec
.LBB15_19:                              ;   in Loop: Header=BB15_9 Depth=1
	s_or_b64 exec, exec, s[6:7]
	s_and_b64 exec, exec, s[42:43]
	s_cbranch_execz .LBB15_22
; %bb.20:                               ;   in Loop: Header=BB15_9 Depth=1
	v_lshlrev_b64 v[36:37], 4, v[24:25]
	v_mov_b32_e32 v38, s57
	v_add_co_u32_e32 v24, vcc, v9, v36
	v_addc_co_u32_e32 v25, vcc, v10, v37, vcc
	v_add_co_u32_e32 v36, vcc, v36, v14
	v_addc_co_u32_e32 v37, vcc, v37, v15, vcc
	;; [unrolled: 2-line block ×3, first 2 shown]
	s_mov_b64 s[42:43], 0
.LBB15_21:                              ;   Parent Loop BB15_9 Depth=1
                                        ; =>  This Inner Loop Header: Depth=2
	v_add_co_u32_e32 v38, vcc, v36, v22
	v_addc_co_u32_e32 v39, vcc, v37, v23, vcc
	global_load_dwordx4 v[38:41], v[38:39], off
	v_add_co_u32_e32 v42, vcc, v24, v22
	v_addc_co_u32_e32 v43, vcc, v25, v23, vcc
	v_add_co_u32_e32 v24, vcc, 0x200, v24
	v_add_u32_e32 v3, 32, v3
	v_addc_co_u32_e32 v25, vcc, 0, v25, vcc
	v_add_co_u32_e32 v36, vcc, 0x200, v36
	v_cmp_ge_i32_e64 s[6:7], v3, v26
	v_addc_co_u32_e32 v37, vcc, 0, v37, vcc
	s_or_b64 s[42:43], s[6:7], s[42:43]
	s_waitcnt vmcnt(0)
	global_store_dwordx4 v[42:43], v[38:41], off
	s_andn2_b64 exec, exec, s[42:43]
	s_cbranch_execnz .LBB15_21
.LBB15_22:                              ;   in Loop: Header=BB15_9 Depth=1
	s_or_b64 exec, exec, s[40:41]
	v_lshlrev_b32_e32 v3, 3, v26
	v_add_u32_e32 v24, v3, v1
	v_cmp_lt_i32_e32 vcc, v24, v8
	s_and_saveexec_b64 s[6:7], vcc
	s_cbranch_execz .LBB15_30
; %bb.23:                               ;   in Loop: Header=BB15_9 Depth=1
	v_add_u32_e32 v25, v6, v3
	v_max_i32_e32 v25, v25, v8
	v_add_u32_e32 v25, v25, v28
	v_sub_u32_e32 v3, v25, v3
	v_cmp_lt_u32_e32 vcc, s61, v3
	s_mov_b64 s[42:43], -1
	s_and_saveexec_b64 s[40:41], vcc
	s_cbranch_execz .LBB15_27
; %bb.24:                               ;   in Loop: Header=BB15_9 Depth=1
	v_lshrrev_b32_e32 v3, 5, v3
	v_add_u32_e32 v3, 1, v3
	v_add_u32_e32 v25, 32, v24
	v_and_b32_e32 v36, 0xffffffc, v3
	v_mov_b32_e32 v26, v25
	s_mov_b64 s[42:43], 0
	v_mov_b32_e32 v37, v36
	v_mov_b32_e32 v25, v24
.LBB15_25:                              ;   Parent Loop BB15_9 Depth=1
                                        ; =>  This Inner Loop Header: Depth=2
	v_ashrrev_i32_e32 v45, 31, v25
	v_mov_b32_e32 v44, v25
	v_lshlrev_b64 v[44:45], 1, v[44:45]
	v_ashrrev_i32_e32 v43, 31, v26
	v_mov_b32_e32 v42, v26
	v_add_u32_e32 v38, 64, v25
	v_lshlrev_b64 v[42:43], 1, v[42:43]
	v_add_co_u32_e32 v46, vcc, v32, v44
	v_ashrrev_i32_e32 v39, 31, v38
	v_addc_co_u32_e32 v47, vcc, v33, v45, vcc
	v_add_u32_e32 v40, 64, v26
	v_lshlrev_b64 v[38:39], 1, v[38:39]
	v_add_co_u32_e32 v48, vcc, v32, v42
	v_ashrrev_i32_e32 v41, 31, v40
	v_addc_co_u32_e32 v49, vcc, v33, v43, vcc
	v_lshlrev_b64 v[40:41], 1, v[40:41]
	v_add_co_u32_e32 v50, vcc, v32, v38
	v_addc_co_u32_e32 v51, vcc, v33, v39, vcc
	v_add_co_u32_e32 v52, vcc, v32, v40
	v_addc_co_u32_e32 v53, vcc, v33, v41, vcc
	global_load_ushort v46, v[46:47], off
	s_nop 0
	global_load_ushort v47, v[48:49], off
	s_nop 0
	global_load_ushort v48, v[50:51], off
	global_load_ushort v49, v[52:53], off
	v_add_u32_e32 v37, -4, v37
	v_cmp_eq_u32_e32 vcc, 0, v37
	s_or_b64 s[42:43], vcc, s[42:43]
	v_add_co_u32_e32 v44, vcc, v34, v44
	v_addc_co_u32_e32 v45, vcc, v35, v45, vcc
	v_add_co_u32_e32 v42, vcc, v34, v42
	v_addc_co_u32_e32 v43, vcc, v35, v43, vcc
	;; [unrolled: 2-line block ×3, first 2 shown]
	v_add_u32_e32 v26, 0x80, v26
	v_add_u32_e32 v25, 0x80, v25
	v_add_co_u32_e32 v40, vcc, v34, v40
	v_addc_co_u32_e32 v41, vcc, v35, v41, vcc
	s_waitcnt vmcnt(3)
	global_store_short v[44:45], v46, off
	s_waitcnt vmcnt(3)
	global_store_short v[42:43], v47, off
	;; [unrolled: 2-line block ×4, first 2 shown]
	s_andn2_b64 exec, exec, s[42:43]
	s_cbranch_execnz .LBB15_25
; %bb.26:                               ;   in Loop: Header=BB15_9 Depth=1
	s_or_b64 exec, exec, s[42:43]
	v_cmp_ne_u32_e32 vcc, v3, v36
	v_lshl_add_u32 v24, v36, 5, v24
	s_orn2_b64 s[42:43], vcc, exec
.LBB15_27:                              ;   in Loop: Header=BB15_9 Depth=1
	s_or_b64 exec, exec, s[40:41]
	s_and_b64 exec, exec, s[42:43]
	s_cbranch_execz .LBB15_30
; %bb.28:                               ;   in Loop: Header=BB15_9 Depth=1
	v_ashrrev_i32_e32 v25, 31, v24
	v_lshlrev_b64 v[25:26], 1, v[24:25]
	s_mov_b64 s[40:41], 0
	v_add_co_u32_e32 v3, vcc, v22, v25
	v_addc_co_u32_e32 v22, vcc, v23, v26, vcc
.LBB15_29:                              ;   Parent Loop BB15_9 Depth=1
                                        ; =>  This Inner Loop Header: Depth=2
	v_add_co_u32_e32 v25, vcc, v20, v3
	v_addc_co_u32_e32 v26, vcc, v21, v22, vcc
	global_load_ushort v23, v[25:26], off
	v_add_co_u32_e32 v25, vcc, v9, v3
	v_addc_co_u32_e32 v26, vcc, v10, v22, vcc
	v_add_co_u32_e32 v3, vcc, 64, v3
	v_add_u32_e32 v24, 32, v24
	v_addc_co_u32_e32 v22, vcc, 0, v22, vcc
	v_cmp_ge_i32_e32 vcc, v24, v8
	s_or_b64 s[40:41], vcc, s[40:41]
	s_waitcnt vmcnt(0)
	global_store_short v[25:26], v23, off
	s_andn2_b64 exec, exec, s[40:41]
	s_cbranch_execnz .LBB15_29
.LBB15_30:                              ;   in Loop: Header=BB15_9 Depth=1
	s_or_b64 exec, exec, s[6:7]
                                        ; implicit-def: $vgpr20_vgpr21
                                        ; implicit-def: $vgpr8
                                        ; implicit-def: $vgpr26
                                        ; implicit-def: $vgpr34
                                        ; implicit-def: $vgpr35
.LBB15_31:                              ;   in Loop: Header=BB15_9 Depth=1
	s_andn2_saveexec_b64 s[38:39], s[38:39]
	s_cbranch_execz .LBB15_43
; %bb.32:                               ;   in Loop: Header=BB15_9 Depth=1
	s_and_saveexec_b64 s[40:41], s[0:1]
	s_cbranch_execz .LBB15_42
; %bb.33:                               ;   in Loop: Header=BB15_9 Depth=1
	v_mov_b32_e32 v23, v2
	s_mov_b64 s[42:43], -1
	v_mov_b32_e32 v3, v1
	v_mov_b32_e32 v22, v1
	s_and_saveexec_b64 s[6:7], s[2:3]
	s_cbranch_execz .LBB15_39
; %bb.34:                               ;   in Loop: Header=BB15_9 Depth=1
	v_mov_b32_e32 v23, v6
	s_mov_b64 s[42:43], 0
	v_mov_b32_e32 v24, v29
	v_mov_b32_e32 v22, v5
.LBB15_35:                              ;   Parent Loop BB15_9 Depth=1
                                        ; =>  This Inner Loop Header: Depth=2
	v_mov_b32_e32 v3, v22
	v_lshlrev_b64 v[32:33], 4, v[3:4]
	v_mov_b32_e32 v3, v23
	v_lshlrev_b64 v[44:45], 4, v[3:4]
	v_add_co_u32_e32 v36, vcc, v8, v32
	v_addc_co_u32_e32 v37, vcc, v26, v33, vcc
	v_add_co_u32_e32 v40, vcc, v8, v44
	v_addc_co_u32_e32 v41, vcc, v26, v45, vcc
	global_load_dwordx4 v[36:39], v[36:37], off
	s_nop 0
	global_load_dwordx4 v[40:43], v[40:41], off
	v_add_u32_e32 v24, -2, v24
	v_cmp_eq_u32_e32 vcc, 0, v24
	s_or_b64 s[42:43], vcc, s[42:43]
	v_add_co_u32_e32 v32, vcc, v34, v32
	v_addc_co_u32_e32 v33, vcc, v35, v33, vcc
	v_add_u32_e32 v22, 64, v22
	v_add_u32_e32 v23, 64, v23
	v_add_co_u32_e32 v44, vcc, v34, v44
	v_addc_co_u32_e32 v45, vcc, v35, v45, vcc
	s_waitcnt vmcnt(1)
	global_store_dwordx4 v[32:33], v[36:39], off
	s_waitcnt vmcnt(1)
	global_store_dwordx4 v[44:45], v[40:43], off
	s_andn2_b64 exec, exec, s[42:43]
	s_cbranch_execnz .LBB15_35
; %bb.36:                               ;   in Loop: Header=BB15_9 Depth=1
	s_or_b64 exec, exec, s[42:43]
	s_mov_b64 s[42:43], 0
                                        ; implicit-def: $vgpr22_vgpr23
	s_and_saveexec_b64 s[44:45], s[4:5]
; %bb.37:                               ;   in Loop: Header=BB15_9 Depth=1
	v_mov_b32_e32 v8, v4
	v_mov_b32_e32 v23, v8
	s_mov_b64 s[42:43], exec
	v_mov_b32_e32 v22, v7
; %bb.38:                               ;   in Loop: Header=BB15_9 Depth=1
	s_or_b64 exec, exec, s[44:45]
	s_orn2_b64 s[42:43], s[42:43], exec
	v_mov_b32_e32 v3, v7
.LBB15_39:                              ;   in Loop: Header=BB15_9 Depth=1
	s_or_b64 exec, exec, s[6:7]
	s_and_b64 exec, exec, s[42:43]
	s_cbranch_execz .LBB15_42
; %bb.40:                               ;   in Loop: Header=BB15_9 Depth=1
	v_lshlrev_b64 v[22:23], 4, v[22:23]
	v_mov_b32_e32 v25, v10
	s_mov_b64 s[42:43], 0
	v_mov_b32_e32 v24, v9
.LBB15_41:                              ;   Parent Loop BB15_9 Depth=1
                                        ; =>  This Inner Loop Header: Depth=2
	v_add_co_u32_e32 v32, vcc, v20, v22
	v_addc_co_u32_e32 v33, vcc, v21, v23, vcc
	global_load_dwordx4 v[32:35], v[32:33], off
	v_add_co_u32_e32 v36, vcc, v24, v22
	v_addc_co_u32_e32 v37, vcc, v25, v23, vcc
	v_add_co_u32_e32 v24, vcc, 0x200, v24
	v_add_u32_e32 v3, 32, v3
	v_addc_co_u32_e32 v25, vcc, 0, v25, vcc
	v_add_co_u32_e32 v20, vcc, 0x200, v20
	v_cmp_le_i32_e64 s[6:7], s55, v3
	v_addc_co_u32_e32 v21, vcc, 0, v21, vcc
	s_or_b64 s[42:43], s[6:7], s[42:43]
	s_waitcnt vmcnt(0)
	global_store_dwordx4 v[36:37], v[32:35], off
	s_andn2_b64 exec, exec, s[42:43]
	s_cbranch_execnz .LBB15_41
.LBB15_42:                              ;   in Loop: Header=BB15_9 Depth=1
	s_or_b64 exec, exec, s[40:41]
.LBB15_43:                              ;   in Loop: Header=BB15_9 Depth=1
	s_or_b64 exec, exec, s[38:39]
	v_mov_b32_e32 v3, s60
	v_add_co_u32_e32 v20, vcc, s59, v14
	v_addc_co_u32_e32 v21, vcc, v3, v15, vcc
	v_mov_b32_e32 v3, s48
	v_add_co_u32_e32 v8, vcc, s33, v18
	v_addc_co_u32_e32 v23, vcc, v3, v19, vcc
	v_and_b32_e32 v3, 15, v8
	v_mov_b32_e32 v18, s49
	v_cmp_ne_u64_e32 vcc, 0, v[3:4]
	v_add_co_u32_e64 v24, s[6:7], s46, v16
	v_addc_co_u32_e64 v25, s[6:7], v18, v17, s[6:7]
	s_or_b64 s[6:7], s[36:37], vcc
	s_and_saveexec_b64 s[38:39], s[6:7]
	s_xor_b64 s[38:39], exec, s[38:39]
	s_cbranch_execz .LBB15_65
; %bb.44:                               ;   in Loop: Header=BB15_9 Depth=1
	v_sub_u32_e32 v3, 0, v8
	v_bfe_u32 v3, v3, 1, 3
	v_min_i32_e32 v18, s25, v3
	v_cmp_lt_i32_e32 vcc, v1, v18
	s_and_saveexec_b64 s[6:7], vcc
	s_cbranch_execz .LBB15_46
; %bb.45:                               ;   in Loop: Header=BB15_9 Depth=1
	v_lshlrev_b32_e32 v3, 1, v1
	v_add_co_u32_e32 v16, vcc, v8, v3
	v_addc_co_u32_e32 v17, vcc, 0, v23, vcc
	global_load_ushort v19, v[16:17], off
	v_add_co_u32_e32 v16, vcc, v24, v3
	v_addc_co_u32_e32 v17, vcc, 0, v25, vcc
	s_waitcnt vmcnt(0)
	global_store_short v[16:17], v19, off
.LBB15_46:                              ;   in Loop: Header=BB15_9 Depth=1
	s_or_b64 exec, exec, s[6:7]
	v_ashrrev_i32_e32 v19, 31, v18
	v_lshlrev_b64 v[16:17], 1, v[18:19]
	v_add_co_u32_e32 v22, vcc, v8, v16
	v_sub_u32_e32 v8, s25, v18
	v_ashrrev_i32_e32 v3, 31, v8
	v_addc_co_u32_e32 v23, vcc, v23, v17, vcc
	v_lshrrev_b32_e32 v3, 29, v3
	v_add_co_u32_e32 v24, vcc, v24, v16
	v_add_u32_e32 v3, v8, v3
	v_addc_co_u32_e32 v25, vcc, v25, v17, vcc
	v_ashrrev_i32_e32 v26, 3, v3
	v_cmp_lt_i32_e32 vcc, v1, v26
	s_and_saveexec_b64 s[40:41], vcc
	s_cbranch_execz .LBB15_56
; %bb.47:                               ;   in Loop: Header=BB15_9 Depth=1
	v_add_u32_e32 v32, v26, v28
	v_mov_b32_e32 v19, v2
	v_cmp_lt_u32_e32 vcc, 31, v32
	s_mov_b64 s[42:43], -1
	v_mov_b32_e32 v3, v1
	v_mov_b32_e32 v18, v1
	s_and_saveexec_b64 s[6:7], vcc
	s_cbranch_execz .LBB15_53
; %bb.48:                               ;   in Loop: Header=BB15_9 Depth=1
	v_lshrrev_b32_e32 v3, 5, v32
	v_add_u32_e32 v33, 1, v3
	v_and_b32_e32 v32, 0xffffffe, v33
	v_mov_b32_e32 v19, v6
	s_mov_b64 s[42:43], 0
	v_mov_b32_e32 v34, v32
	v_mov_b32_e32 v18, v5
.LBB15_49:                              ;   Parent Loop BB15_9 Depth=1
                                        ; =>  This Inner Loop Header: Depth=2
	v_mov_b32_e32 v3, v18
	v_lshlrev_b64 v[43:44], 4, v[3:4]
	v_mov_b32_e32 v3, v19
	v_lshlrev_b64 v[45:46], 4, v[3:4]
	v_add_co_u32_e32 v35, vcc, v22, v43
	v_addc_co_u32_e32 v36, vcc, v23, v44, vcc
	v_add_co_u32_e32 v39, vcc, v22, v45
	v_addc_co_u32_e32 v40, vcc, v23, v46, vcc
	global_load_dwordx4 v[35:38], v[35:36], off
	s_nop 0
	global_load_dwordx4 v[39:42], v[39:40], off
	v_add_u32_e32 v34, -2, v34
	v_cmp_eq_u32_e32 vcc, 0, v34
	s_or_b64 s[42:43], vcc, s[42:43]
	v_add_co_u32_e32 v43, vcc, v24, v43
	v_addc_co_u32_e32 v44, vcc, v25, v44, vcc
	v_add_u32_e32 v18, 64, v18
	v_add_u32_e32 v19, 64, v19
	v_add_co_u32_e32 v45, vcc, v24, v45
	v_addc_co_u32_e32 v46, vcc, v25, v46, vcc
	s_waitcnt vmcnt(1)
	global_store_dwordx4 v[43:44], v[35:38], off
	s_waitcnt vmcnt(1)
	global_store_dwordx4 v[45:46], v[39:42], off
	s_andn2_b64 exec, exec, s[42:43]
	s_cbranch_execnz .LBB15_49
; %bb.50:                               ;   in Loop: Header=BB15_9 Depth=1
	s_or_b64 exec, exec, s[42:43]
	v_cmp_ne_u32_e32 vcc, v33, v32
	s_mov_b64 s[42:43], 0
                                        ; implicit-def: $vgpr18_vgpr19
	s_and_saveexec_b64 s[44:45], vcc
; %bb.51:                               ;   in Loop: Header=BB15_9 Depth=1
	v_lshl_or_b32 v3, v32, 5, v1
	v_mov_b32_e32 v19, v4
	s_mov_b64 s[42:43], exec
	v_mov_b32_e32 v18, v3
; %bb.52:                               ;   in Loop: Header=BB15_9 Depth=1
	s_or_b64 exec, exec, s[44:45]
	s_orn2_b64 s[42:43], s[42:43], exec
.LBB15_53:                              ;   in Loop: Header=BB15_9 Depth=1
	s_or_b64 exec, exec, s[6:7]
	s_and_b64 exec, exec, s[42:43]
	s_cbranch_execz .LBB15_56
; %bb.54:                               ;   in Loop: Header=BB15_9 Depth=1
	v_lshlrev_b64 v[32:33], 4, v[18:19]
	s_mov_b64 s[42:43], 0
	v_add_co_u32_e32 v18, vcc, v11, v32
	v_addc_co_u32_e32 v19, vcc, v12, v33, vcc
	v_add_co_u32_e32 v14, vcc, v32, v14
	v_addc_co_u32_e32 v15, vcc, v33, v15, vcc
	v_mov_b32_e32 v32, s60
	v_add_co_u32_e32 v14, vcc, s59, v14
	v_addc_co_u32_e32 v15, vcc, v32, v15, vcc
.LBB15_55:                              ;   Parent Loop BB15_9 Depth=1
                                        ; =>  This Inner Loop Header: Depth=2
	v_add_co_u32_e32 v32, vcc, v14, v16
	v_addc_co_u32_e32 v33, vcc, v15, v17, vcc
	global_load_dwordx4 v[32:35], v[32:33], off
	v_add_co_u32_e32 v36, vcc, v18, v16
	v_addc_co_u32_e32 v37, vcc, v19, v17, vcc
	v_add_co_u32_e32 v18, vcc, 0x200, v18
	v_add_u32_e32 v3, 32, v3
	v_addc_co_u32_e32 v19, vcc, 0, v19, vcc
	v_add_co_u32_e32 v14, vcc, 0x200, v14
	v_cmp_ge_i32_e64 s[6:7], v3, v26
	v_addc_co_u32_e32 v15, vcc, 0, v15, vcc
	s_or_b64 s[42:43], s[6:7], s[42:43]
	s_waitcnt vmcnt(0)
	global_store_dwordx4 v[36:37], v[32:35], off
	s_andn2_b64 exec, exec, s[42:43]
	s_cbranch_execnz .LBB15_55
.LBB15_56:                              ;   in Loop: Header=BB15_9 Depth=1
	s_or_b64 exec, exec, s[40:41]
	v_lshlrev_b32_e32 v3, 3, v26
	v_add_u32_e32 v14, v3, v1
	v_cmp_lt_i32_e32 vcc, v14, v8
	s_and_saveexec_b64 s[6:7], vcc
	s_cbranch_execz .LBB15_64
; %bb.57:                               ;   in Loop: Header=BB15_9 Depth=1
	v_add_u32_e32 v15, v6, v3
	v_max_i32_e32 v15, v15, v8
	v_add_u32_e32 v15, v15, v28
	v_sub_u32_e32 v3, v15, v3
	v_cmp_lt_u32_e32 vcc, s61, v3
	s_mov_b64 s[42:43], -1
	s_and_saveexec_b64 s[40:41], vcc
	s_cbranch_execz .LBB15_61
; %bb.58:                               ;   in Loop: Header=BB15_9 Depth=1
	v_lshrrev_b32_e32 v3, 5, v3
	v_add_u32_e32 v3, 1, v3
	v_add_u32_e32 v15, 32, v14
	v_and_b32_e32 v26, 0xffffffc, v3
	v_mov_b32_e32 v19, v15
	s_mov_b64 s[42:43], 0
	v_mov_b32_e32 v32, v26
	v_mov_b32_e32 v18, v14
.LBB15_59:                              ;   Parent Loop BB15_9 Depth=1
                                        ; =>  This Inner Loop Header: Depth=2
	v_ashrrev_i32_e32 v40, 31, v18
	v_mov_b32_e32 v39, v18
	v_lshlrev_b64 v[39:40], 1, v[39:40]
	v_ashrrev_i32_e32 v38, 31, v19
	v_mov_b32_e32 v37, v19
	v_add_u32_e32 v33, 64, v18
	v_lshlrev_b64 v[37:38], 1, v[37:38]
	v_add_co_u32_e32 v41, vcc, v22, v39
	v_ashrrev_i32_e32 v34, 31, v33
	v_addc_co_u32_e32 v42, vcc, v23, v40, vcc
	v_add_u32_e32 v35, 64, v19
	v_lshlrev_b64 v[33:34], 1, v[33:34]
	v_add_co_u32_e32 v43, vcc, v22, v37
	v_ashrrev_i32_e32 v36, 31, v35
	v_addc_co_u32_e32 v44, vcc, v23, v38, vcc
	v_lshlrev_b64 v[35:36], 1, v[35:36]
	v_add_co_u32_e32 v45, vcc, v22, v33
	v_addc_co_u32_e32 v46, vcc, v23, v34, vcc
	v_add_co_u32_e32 v47, vcc, v22, v35
	v_addc_co_u32_e32 v48, vcc, v23, v36, vcc
	global_load_ushort v15, v[41:42], off
	s_nop 0
	global_load_ushort v41, v[43:44], off
	global_load_ushort v42, v[45:46], off
	s_nop 0
	global_load_ushort v43, v[47:48], off
	v_add_u32_e32 v32, -4, v32
	v_cmp_eq_u32_e32 vcc, 0, v32
	s_or_b64 s[42:43], vcc, s[42:43]
	v_add_co_u32_e32 v39, vcc, v24, v39
	v_addc_co_u32_e32 v40, vcc, v25, v40, vcc
	v_add_co_u32_e32 v37, vcc, v24, v37
	v_addc_co_u32_e32 v38, vcc, v25, v38, vcc
	;; [unrolled: 2-line block ×3, first 2 shown]
	v_add_u32_e32 v19, 0x80, v19
	v_add_u32_e32 v18, 0x80, v18
	v_add_co_u32_e32 v35, vcc, v24, v35
	v_addc_co_u32_e32 v36, vcc, v25, v36, vcc
	s_waitcnt vmcnt(3)
	global_store_short v[39:40], v15, off
	s_waitcnt vmcnt(3)
	global_store_short v[37:38], v41, off
	;; [unrolled: 2-line block ×4, first 2 shown]
	s_andn2_b64 exec, exec, s[42:43]
	s_cbranch_execnz .LBB15_59
; %bb.60:                               ;   in Loop: Header=BB15_9 Depth=1
	s_or_b64 exec, exec, s[42:43]
	v_cmp_ne_u32_e32 vcc, v3, v26
	v_lshl_add_u32 v14, v26, 5, v14
	s_orn2_b64 s[42:43], vcc, exec
.LBB15_61:                              ;   in Loop: Header=BB15_9 Depth=1
	s_or_b64 exec, exec, s[40:41]
	s_and_b64 exec, exec, s[42:43]
	s_cbranch_execz .LBB15_64
; %bb.62:                               ;   in Loop: Header=BB15_9 Depth=1
	v_ashrrev_i32_e32 v15, 31, v14
	v_lshlrev_b64 v[18:19], 1, v[14:15]
	s_mov_b64 s[40:41], 0
	v_add_co_u32_e32 v3, vcc, v16, v18
	v_addc_co_u32_e32 v15, vcc, v17, v19, vcc
.LBB15_63:                              ;   Parent Loop BB15_9 Depth=1
                                        ; =>  This Inner Loop Header: Depth=2
	v_add_co_u32_e32 v16, vcc, v20, v3
	v_addc_co_u32_e32 v17, vcc, v21, v15, vcc
	global_load_ushort v18, v[16:17], off
	v_add_co_u32_e32 v16, vcc, v11, v3
	v_addc_co_u32_e32 v17, vcc, v12, v15, vcc
	v_add_co_u32_e32 v3, vcc, 64, v3
	v_add_u32_e32 v14, 32, v14
	v_addc_co_u32_e32 v15, vcc, 0, v15, vcc
	v_cmp_ge_i32_e32 vcc, v14, v8
	s_or_b64 s[40:41], vcc, s[40:41]
	s_waitcnt vmcnt(0)
	global_store_short v[16:17], v18, off
	s_andn2_b64 exec, exec, s[40:41]
	s_cbranch_execnz .LBB15_63
.LBB15_64:                              ;   in Loop: Header=BB15_9 Depth=1
	s_or_b64 exec, exec, s[6:7]
                                        ; implicit-def: $vgpr20_vgpr21
                                        ; implicit-def: $vgpr8
                                        ; implicit-def: $vgpr23
                                        ; implicit-def: $vgpr24
                                        ; implicit-def: $vgpr25
.LBB15_65:                              ;   in Loop: Header=BB15_9 Depth=1
	s_andn2_saveexec_b64 s[38:39], s[38:39]
	s_cbranch_execz .LBB15_8
; %bb.66:                               ;   in Loop: Header=BB15_9 Depth=1
	s_and_saveexec_b64 s[40:41], s[0:1]
	s_cbranch_execz .LBB15_7
; %bb.67:                               ;   in Loop: Header=BB15_9 Depth=1
	v_mov_b32_e32 v15, v2
	s_mov_b64 s[42:43], -1
	v_mov_b32_e32 v3, v1
	v_mov_b32_e32 v14, v1
	s_and_saveexec_b64 s[6:7], s[2:3]
	s_cbranch_execz .LBB15_73
; %bb.68:                               ;   in Loop: Header=BB15_9 Depth=1
	v_mov_b32_e32 v15, v6
	s_mov_b64 s[42:43], 0
	v_mov_b32_e32 v16, v29
	v_mov_b32_e32 v14, v5
.LBB15_69:                              ;   Parent Loop BB15_9 Depth=1
                                        ; =>  This Inner Loop Header: Depth=2
	v_mov_b32_e32 v3, v14
	v_lshlrev_b64 v[17:18], 4, v[3:4]
	v_mov_b32_e32 v3, v15
	v_lshlrev_b64 v[40:41], 4, v[3:4]
	v_add_co_u32_e32 v32, vcc, v8, v17
	v_addc_co_u32_e32 v33, vcc, v23, v18, vcc
	v_add_co_u32_e32 v36, vcc, v8, v40
	v_addc_co_u32_e32 v37, vcc, v23, v41, vcc
	global_load_dwordx4 v[32:35], v[32:33], off
	s_nop 0
	global_load_dwordx4 v[36:39], v[36:37], off
	v_add_u32_e32 v16, -2, v16
	v_cmp_eq_u32_e32 vcc, 0, v16
	s_or_b64 s[42:43], vcc, s[42:43]
	v_add_co_u32_e32 v17, vcc, v24, v17
	v_addc_co_u32_e32 v18, vcc, v25, v18, vcc
	v_add_u32_e32 v14, 64, v14
	v_add_u32_e32 v15, 64, v15
	v_add_co_u32_e32 v40, vcc, v24, v40
	v_addc_co_u32_e32 v41, vcc, v25, v41, vcc
	s_waitcnt vmcnt(1)
	global_store_dwordx4 v[17:18], v[32:35], off
	s_waitcnt vmcnt(1)
	global_store_dwordx4 v[40:41], v[36:39], off
	s_andn2_b64 exec, exec, s[42:43]
	s_cbranch_execnz .LBB15_69
; %bb.70:                               ;   in Loop: Header=BB15_9 Depth=1
	s_or_b64 exec, exec, s[42:43]
	s_mov_b64 s[42:43], 0
                                        ; implicit-def: $vgpr14_vgpr15
	s_and_saveexec_b64 s[44:45], s[4:5]
; %bb.71:                               ;   in Loop: Header=BB15_9 Depth=1
	v_mov_b32_e32 v8, v4
	v_mov_b32_e32 v15, v8
	s_mov_b64 s[42:43], exec
	v_mov_b32_e32 v14, v7
; %bb.72:                               ;   in Loop: Header=BB15_9 Depth=1
	s_or_b64 exec, exec, s[44:45]
	s_orn2_b64 s[42:43], s[42:43], exec
	v_mov_b32_e32 v3, v7
.LBB15_73:                              ;   in Loop: Header=BB15_9 Depth=1
	s_or_b64 exec, exec, s[6:7]
	s_and_b64 exec, exec, s[42:43]
	s_cbranch_execz .LBB15_7
; %bb.74:                               ;   in Loop: Header=BB15_9 Depth=1
	v_lshlrev_b64 v[14:15], 4, v[14:15]
	v_mov_b32_e32 v17, v12
	s_mov_b64 s[42:43], 0
	v_mov_b32_e32 v16, v11
.LBB15_75:                              ;   Parent Loop BB15_9 Depth=1
                                        ; =>  This Inner Loop Header: Depth=2
	v_add_co_u32_e32 v18, vcc, v20, v14
	v_addc_co_u32_e32 v19, vcc, v21, v15, vcc
	global_load_dwordx4 v[22:25], v[18:19], off
	v_add_co_u32_e32 v18, vcc, v16, v14
	v_addc_co_u32_e32 v19, vcc, v17, v15, vcc
	v_add_co_u32_e32 v16, vcc, 0x200, v16
	v_add_u32_e32 v3, 32, v3
	v_addc_co_u32_e32 v17, vcc, 0, v17, vcc
	v_add_co_u32_e32 v20, vcc, 0x200, v20
	v_cmp_le_i32_e64 s[6:7], s55, v3
	v_addc_co_u32_e32 v21, vcc, 0, v21, vcc
	s_or_b64 s[42:43], s[6:7], s[42:43]
	s_waitcnt vmcnt(0)
	global_store_dwordx4 v[18:19], v[22:25], off
	s_andn2_b64 exec, exec, s[42:43]
	s_cbranch_execnz .LBB15_75
	s_branch .LBB15_7
.LBB15_76:
	s_or_b64 exec, exec, s[28:29]
	s_mov_b64 s[0:1], 0
.LBB15_77:
	s_andn2_b64 vcc, exec, s[0:1]
	s_cbranch_vccnz .LBB15_139
; %bb.78:
	s_and_b32 s0, s50, 15
	s_mov_b32 s1, 0
	s_mul_i32 s24, s25, s24
	s_cmp_lg_u64 s[0:1], 0
	s_cselect_b64 s[2:3], -1, 0
	s_and_b32 s4, s24, 7
	s_cmp_eq_u32 s4, 0
	s_cselect_b64 s[0:1], -1, 0
	s_cmp_lg_u32 s4, 0
	s_cselect_b64 s[4:5], -1, 0
	s_or_b64 s[4:5], s[2:3], s[4:5]
	s_mov_b64 s[2:3], -1
	s_and_b64 vcc, exec, s[4:5]
	s_cbranch_vccz .LBB15_99
; %bb.79:
	s_sub_i32 s2, 0, s50
	s_bfe_u32 s2, s2, 0x30001
	s_min_i32 s4, s2, s24
	v_cmp_gt_i32_e32 vcc, s4, v0
	s_and_saveexec_b64 s[2:3], vcc
	s_cbranch_execz .LBB15_82
; %bb.80:
	v_lshlrev_b32_e32 v1, 1, v0
	v_mov_b32_e32 v2, 0
	s_lshl_b32 s5, s47, 1
	s_mov_b64 s[6:7], 0
	v_mov_b32_e32 v3, s53
	v_mov_b32_e32 v4, s51
	;; [unrolled: 1-line block ×3, first 2 shown]
.LBB15_81:                              ; =>This Inner Loop Header: Depth=1
	v_add_co_u32_e32 v6, vcc, s50, v1
	v_addc_co_u32_e32 v7, vcc, v4, v2, vcc
	global_load_ushort v8, v[6:7], off
	v_add_co_u32_e32 v6, vcc, s52, v1
	v_addc_co_u32_e32 v7, vcc, v3, v2, vcc
	v_add_co_u32_e32 v1, vcc, s5, v1
	v_add_u32_e32 v5, s47, v5
	v_addc_co_u32_e32 v2, vcc, 0, v2, vcc
	v_cmp_le_i32_e32 vcc, s4, v5
	s_or_b64 s[6:7], vcc, s[6:7]
	s_waitcnt vmcnt(0)
	global_store_short v[6:7], v8, off
	s_andn2_b64 exec, exec, s[6:7]
	s_cbranch_execnz .LBB15_81
.LBB15_82:
	s_or_b64 exec, exec, s[2:3]
	s_ashr_i32 s5, s4, 31
	s_lshl_b64 s[2:3], s[4:5], 1
	s_add_u32 s28, s50, s2
	s_addc_u32 s30, s51, s3
	s_add_u32 s29, s52, s2
	s_addc_u32 s31, s53, s3
	s_sub_i32 s25, s24, s4
	s_ashr_i32 s4, s25, 31
	s_lshr_b32 s4, s4, 29
	s_add_i32 s4, s25, s4
	s_ashr_i32 s34, s4, 3
	v_cmp_gt_i32_e32 vcc, s34, v0
	s_and_saveexec_b64 s[4:5], vcc
	s_cbranch_execz .LBB15_90
; %bb.83:
	v_add_u32_e32 v1, 1, v0
	v_max_i32_e32 v2, s34, v1
	s_and_b32 s6, s47, 0xffff
	v_sub_u32_e32 v5, v2, v0
	s_cmp_eq_u32 s6, 1
	v_cmp_lt_u32_e32 vcc, 1, v5
	s_cselect_b64 s[6:7], -1, 0
	s_and_b64 s[36:37], vcc, s[6:7]
	s_mov_b64 s[20:21], -1
	v_mov_b32_e32 v2, v0
	s_and_saveexec_b64 s[6:7], s[36:37]
	s_cbranch_execz .LBB15_87
; %bb.84:
	v_and_b32_e32 v6, -2, v5
	v_mov_b32_e32 v4, v1
	s_mov_b64 s[20:21], 0
	v_mov_b32_e32 v2, 0
	v_mov_b32_e32 v7, s30
	;; [unrolled: 1-line block ×5, first 2 shown]
.LBB15_85:                              ; =>This Inner Loop Header: Depth=1
	v_mov_b32_e32 v1, v3
	v_lshlrev_b64 v[18:19], 4, v[1:2]
	v_mov_b32_e32 v1, v4
	v_lshlrev_b64 v[20:21], 4, v[1:2]
	v_add_co_u32_e32 v22, vcc, s28, v18
	v_addc_co_u32_e32 v23, vcc, v7, v19, vcc
	v_add_co_u32_e32 v24, vcc, s28, v20
	v_addc_co_u32_e32 v25, vcc, v7, v21, vcc
	global_load_dwordx4 v[10:13], v[22:23], off
	global_load_dwordx4 v[14:17], v[24:25], off
	v_add_u32_e32 v9, -2, v9
	v_cmp_eq_u32_e32 vcc, 0, v9
	s_or_b64 s[20:21], vcc, s[20:21]
	v_add_co_u32_e32 v18, vcc, s29, v18
	v_addc_co_u32_e32 v19, vcc, v8, v19, vcc
	v_add_u32_e32 v3, 2, v3
	v_add_u32_e32 v4, 2, v4
	v_add_co_u32_e32 v20, vcc, s29, v20
	v_addc_co_u32_e32 v21, vcc, v8, v21, vcc
	s_waitcnt vmcnt(1)
	global_store_dwordx4 v[18:19], v[10:13], off
	s_waitcnt vmcnt(1)
	global_store_dwordx4 v[20:21], v[14:17], off
	s_andn2_b64 exec, exec, s[20:21]
	s_cbranch_execnz .LBB15_85
; %bb.86:
	s_or_b64 exec, exec, s[20:21]
	v_cmp_ne_u32_e32 vcc, v5, v6
	v_add_u32_e32 v2, v0, v6
	s_orn2_b64 s[20:21], vcc, exec
.LBB15_87:
	s_or_b64 exec, exec, s[6:7]
	s_and_b64 exec, exec, s[20:21]
	s_cbranch_execz .LBB15_90
; %bb.88:
	s_add_u32 s6, s16, s18
	s_addc_u32 s7, s17, s19
	v_mov_b32_e32 v3, 0
	v_lshlrev_b64 v[4:5], 4, v[2:3]
	s_add_u32 s6, s12, s6
	s_addc_u32 s7, s13, s7
	s_lshl_b32 s12, s47, 4
	v_mov_b32_e32 v3, s7
	v_add_co_u32_e32 v1, vcc, s6, v4
	s_add_u32 s6, s8, s26
	v_addc_co_u32_e32 v3, vcc, v3, v5, vcc
	s_addc_u32 s7, s9, s27
	v_mov_b32_e32 v6, s7
	v_add_co_u32_e32 v4, vcc, s6, v4
	v_addc_co_u32_e32 v5, vcc, v6, v5, vcc
	s_mov_b64 s[6:7], 0
	v_mov_b32_e32 v6, s3
.LBB15_89:                              ; =>This Inner Loop Header: Depth=1
	v_add_co_u32_e32 v7, vcc, s2, v4
	v_addc_co_u32_e32 v8, vcc, v5, v6, vcc
	global_load_dwordx4 v[7:10], v[7:8], off
	v_add_co_u32_e32 v11, vcc, s2, v1
	v_addc_co_u32_e32 v12, vcc, v3, v6, vcc
	v_add_co_u32_e32 v1, vcc, s12, v1
	v_addc_co_u32_e32 v3, vcc, 0, v3, vcc
	v_add_co_u32_e32 v4, vcc, s12, v4
	v_add_u32_e32 v2, s47, v2
	v_addc_co_u32_e32 v5, vcc, 0, v5, vcc
	v_cmp_le_i32_e32 vcc, s34, v2
	s_or_b64 s[6:7], vcc, s[6:7]
	s_waitcnt vmcnt(0)
	global_store_dwordx4 v[11:12], v[7:10], off
	s_andn2_b64 exec, exec, s[6:7]
	s_cbranch_execnz .LBB15_89
.LBB15_90:
	s_or_b64 exec, exec, s[4:5]
	v_lshl_add_u32 v1, s34, 3, v0
	v_cmp_gt_i32_e32 vcc, s25, v1
	s_and_saveexec_b64 s[4:5], vcc
	s_cbranch_execz .LBB15_98
; %bb.91:
	v_add_u32_e32 v2, 1, v1
	v_max_i32_e32 v2, s25, v2
	s_and_b32 s6, s47, 0xffff
	v_sub_u32_e32 v4, v2, v1
	s_cmp_eq_u32 s6, 1
	v_cmp_lt_u32_e32 vcc, 3, v4
	s_cselect_b64 s[6:7], -1, 0
	s_and_b64 s[12:13], vcc, s[6:7]
	s_mov_b64 s[8:9], -1
	s_and_saveexec_b64 s[6:7], s[12:13]
	s_cbranch_execz .LBB15_95
; %bb.92:
	v_and_b32_e32 v5, -4, v4
	s_mov_b64 s[8:9], 0
	v_mov_b32_e32 v6, s31
	v_mov_b32_e32 v7, s30
	;; [unrolled: 1-line block ×4, first 2 shown]
.LBB15_93:                              ; =>This Inner Loop Header: Depth=1
	v_ashrrev_i32_e32 v3, 31, v2
	v_lshlrev_b64 v[9:10], 1, v[2:3]
	v_add_u32_e32 v8, -4, v8
	v_add_co_u32_e32 v11, vcc, s28, v9
	v_addc_co_u32_e32 v12, vcc, v7, v10, vcc
	global_load_dwordx2 v[11:12], v[11:12], off
	v_cmp_eq_u32_e32 vcc, 0, v8
	s_or_b64 s[8:9], vcc, s[8:9]
	v_add_co_u32_e32 v9, vcc, s29, v9
	v_addc_co_u32_e32 v10, vcc, v6, v10, vcc
	v_add_u32_e32 v2, 4, v2
	s_waitcnt vmcnt(0)
	global_store_dwordx2 v[9:10], v[11:12], off
	s_andn2_b64 exec, exec, s[8:9]
	s_cbranch_execnz .LBB15_93
; %bb.94:
	s_or_b64 exec, exec, s[8:9]
	v_cmp_ne_u32_e32 vcc, v4, v5
	v_add_u32_e32 v1, v1, v5
	s_orn2_b64 s[8:9], vcc, exec
.LBB15_95:
	s_or_b64 exec, exec, s[6:7]
	s_and_b64 exec, exec, s[8:9]
	s_cbranch_execz .LBB15_98
; %bb.96:
	v_ashrrev_i32_e32 v2, 31, v1
	v_lshlrev_b64 v[2:3], 1, v[1:2]
	v_mov_b32_e32 v4, s3
	v_add_co_u32_e32 v2, vcc, s2, v2
	v_addc_co_u32_e32 v3, vcc, v4, v3, vcc
	s_lshl_b32 s6, s47, 1
	s_mov_b64 s[2:3], 0
	v_mov_b32_e32 v4, s53
	v_mov_b32_e32 v5, s51
.LBB15_97:                              ; =>This Inner Loop Header: Depth=1
	v_add_co_u32_e32 v6, vcc, s50, v2
	v_addc_co_u32_e32 v7, vcc, v5, v3, vcc
	global_load_ushort v8, v[6:7], off
	v_add_co_u32_e32 v6, vcc, s52, v2
	v_addc_co_u32_e32 v7, vcc, v4, v3, vcc
	v_add_co_u32_e32 v2, vcc, s6, v2
	v_add_u32_e32 v1, s47, v1
	v_addc_co_u32_e32 v3, vcc, 0, v3, vcc
	v_cmp_le_i32_e32 vcc, s25, v1
	s_or_b64 s[2:3], vcc, s[2:3]
	s_waitcnt vmcnt(0)
	global_store_short v[6:7], v8, off
	s_andn2_b64 exec, exec, s[2:3]
	s_cbranch_execnz .LBB15_97
.LBB15_98:
	s_or_b64 exec, exec, s[4:5]
	s_mov_b64 s[2:3], 0
.LBB15_99:
	s_and_b64 vcc, exec, s[2:3]
	s_cbranch_vccz .LBB15_109
; %bb.100:
	s_ashr_i32 s8, s24, 3
	v_cmp_gt_i32_e32 vcc, s8, v0
	s_and_saveexec_b64 s[2:3], vcc
	s_cbranch_execz .LBB15_108
; %bb.101:
	v_add_u32_e32 v1, 1, v0
	v_max_i32_e32 v2, s8, v1
	s_and_b32 s4, s47, 0xffff
	v_sub_u32_e32 v5, v2, v0
	s_cmp_eq_u32 s4, 1
	v_cmp_lt_u32_e32 vcc, 1, v5
	s_cselect_b64 s[4:5], -1, 0
	s_and_b64 s[12:13], vcc, s[4:5]
	s_mov_b64 s[6:7], -1
	v_mov_b32_e32 v2, v0
	s_and_saveexec_b64 s[4:5], s[12:13]
	s_cbranch_execz .LBB15_105
; %bb.102:
	v_and_b32_e32 v6, -2, v5
	v_mov_b32_e32 v4, v1
	s_mov_b64 s[6:7], 0
	v_mov_b32_e32 v2, 0
	v_mov_b32_e32 v7, s51
	v_mov_b32_e32 v8, s53
	v_mov_b32_e32 v9, v6
	v_mov_b32_e32 v3, v0
.LBB15_103:                             ; =>This Inner Loop Header: Depth=1
	v_mov_b32_e32 v1, v3
	v_lshlrev_b64 v[18:19], 4, v[1:2]
	v_mov_b32_e32 v1, v4
	v_lshlrev_b64 v[20:21], 4, v[1:2]
	v_add_co_u32_e32 v22, vcc, s50, v18
	v_addc_co_u32_e32 v23, vcc, v7, v19, vcc
	v_add_co_u32_e32 v24, vcc, s50, v20
	v_addc_co_u32_e32 v25, vcc, v7, v21, vcc
	global_load_dwordx4 v[10:13], v[22:23], off
	global_load_dwordx4 v[14:17], v[24:25], off
	v_add_u32_e32 v9, -2, v9
	v_cmp_eq_u32_e32 vcc, 0, v9
	s_or_b64 s[6:7], vcc, s[6:7]
	v_add_co_u32_e32 v18, vcc, s52, v18
	v_addc_co_u32_e32 v19, vcc, v8, v19, vcc
	v_add_u32_e32 v3, 2, v3
	v_add_u32_e32 v4, 2, v4
	v_add_co_u32_e32 v20, vcc, s52, v20
	v_addc_co_u32_e32 v21, vcc, v8, v21, vcc
	s_waitcnt vmcnt(1)
	global_store_dwordx4 v[18:19], v[10:13], off
	s_waitcnt vmcnt(1)
	global_store_dwordx4 v[20:21], v[14:17], off
	s_andn2_b64 exec, exec, s[6:7]
	s_cbranch_execnz .LBB15_103
; %bb.104:
	s_or_b64 exec, exec, s[6:7]
	v_cmp_ne_u32_e32 vcc, v5, v6
	v_add_u32_e32 v2, v0, v6
	s_orn2_b64 s[6:7], vcc, exec
.LBB15_105:
	s_or_b64 exec, exec, s[4:5]
	s_and_b64 exec, exec, s[6:7]
	s_cbranch_execz .LBB15_108
; %bb.106:
	v_mov_b32_e32 v3, 0
	v_lshlrev_b64 v[3:4], 4, v[2:3]
	s_lshl_b32 s6, s47, 4
	s_mov_b64 s[4:5], 0
	v_mov_b32_e32 v1, s51
	v_mov_b32_e32 v5, s53
.LBB15_107:                             ; =>This Inner Loop Header: Depth=1
	v_add_co_u32_e32 v6, vcc, s50, v3
	v_addc_co_u32_e32 v7, vcc, v1, v4, vcc
	global_load_dwordx4 v[6:9], v[6:7], off
	v_add_co_u32_e32 v10, vcc, s52, v3
	v_addc_co_u32_e32 v11, vcc, v5, v4, vcc
	v_add_co_u32_e32 v3, vcc, s6, v3
	v_add_u32_e32 v2, s47, v2
	v_addc_co_u32_e32 v4, vcc, 0, v4, vcc
	v_cmp_le_i32_e32 vcc, s8, v2
	s_or_b64 s[4:5], vcc, s[4:5]
	s_waitcnt vmcnt(0)
	global_store_dwordx4 v[10:11], v[6:9], off
	s_andn2_b64 exec, exec, s[4:5]
	s_cbranch_execnz .LBB15_107
.LBB15_108:
	s_or_b64 exec, exec, s[2:3]
.LBB15_109:
	s_and_b32 s2, s33, 15
	s_mov_b32 s3, 0
	s_cmp_lg_u64 s[2:3], 0
	s_cselect_b64 s[4:5], -1, 0
	s_xor_b64 s[0:1], s[0:1], -1
	s_or_b64 s[0:1], s[0:1], s[4:5]
	s_mov_b64 s[2:3], -1
	s_and_b64 vcc, exec, s[0:1]
	s_cbranch_vccz .LBB15_130
; %bb.110:
	s_sub_i32 s0, 0, s33
	s_bfe_u32 s0, s0, 0x30001
	s_min_i32 s2, s0, s24
	v_cmp_gt_i32_e32 vcc, s2, v0
	s_and_saveexec_b64 s[0:1], vcc
	s_cbranch_execz .LBB15_113
; %bb.111:
	v_lshlrev_b32_e32 v1, 1, v0
	v_mov_b32_e32 v2, 0
	s_lshl_b32 s3, s47, 1
	s_mov_b64 s[4:5], 0
	v_mov_b32_e32 v3, s49
	v_mov_b32_e32 v4, s48
	;; [unrolled: 1-line block ×3, first 2 shown]
.LBB15_112:                             ; =>This Inner Loop Header: Depth=1
	v_add_co_u32_e32 v6, vcc, s33, v1
	v_addc_co_u32_e32 v7, vcc, v4, v2, vcc
	global_load_ushort v8, v[6:7], off
	v_add_co_u32_e32 v6, vcc, s46, v1
	v_addc_co_u32_e32 v7, vcc, v3, v2, vcc
	v_add_co_u32_e32 v1, vcc, s3, v1
	v_add_u32_e32 v5, s47, v5
	v_addc_co_u32_e32 v2, vcc, 0, v2, vcc
	v_cmp_le_i32_e32 vcc, s2, v5
	s_or_b64 s[4:5], vcc, s[4:5]
	s_waitcnt vmcnt(0)
	global_store_short v[6:7], v8, off
	s_andn2_b64 exec, exec, s[4:5]
	s_cbranch_execnz .LBB15_112
.LBB15_113:
	s_or_b64 exec, exec, s[0:1]
	s_ashr_i32 s3, s2, 31
	s_lshl_b64 s[0:1], s[2:3], 1
	s_add_u32 s9, s33, s0
	s_addc_u32 s13, s48, s1
	s_add_u32 s12, s46, s0
	s_addc_u32 s20, s49, s1
	s_sub_i32 s8, s24, s2
	s_ashr_i32 s2, s8, 31
	s_lshr_b32 s2, s2, 29
	s_add_i32 s2, s8, s2
	s_ashr_i32 s21, s2, 3
	v_cmp_gt_i32_e32 vcc, s21, v0
	s_and_saveexec_b64 s[2:3], vcc
	s_cbranch_execz .LBB15_121
; %bb.114:
	v_add_u32_e32 v1, 1, v0
	v_max_i32_e32 v2, s21, v1
	s_and_b32 s4, s47, 0xffff
	v_sub_u32_e32 v5, v2, v0
	s_cmp_eq_u32 s4, 1
	v_cmp_lt_u32_e32 vcc, 1, v5
	s_cselect_b64 s[4:5], -1, 0
	s_and_b64 s[26:27], vcc, s[4:5]
	s_mov_b64 s[6:7], -1
	v_mov_b32_e32 v2, v0
	s_and_saveexec_b64 s[4:5], s[26:27]
	s_cbranch_execz .LBB15_118
; %bb.115:
	v_and_b32_e32 v6, -2, v5
	v_mov_b32_e32 v4, v1
	s_mov_b64 s[6:7], 0
	v_mov_b32_e32 v2, 0
	v_mov_b32_e32 v7, s13
	;; [unrolled: 1-line block ×5, first 2 shown]
.LBB15_116:                             ; =>This Inner Loop Header: Depth=1
	v_mov_b32_e32 v1, v3
	v_lshlrev_b64 v[18:19], 4, v[1:2]
	v_mov_b32_e32 v1, v4
	v_lshlrev_b64 v[20:21], 4, v[1:2]
	v_add_co_u32_e32 v22, vcc, s9, v18
	v_addc_co_u32_e32 v23, vcc, v7, v19, vcc
	v_add_co_u32_e32 v24, vcc, s9, v20
	v_addc_co_u32_e32 v25, vcc, v7, v21, vcc
	global_load_dwordx4 v[10:13], v[22:23], off
	global_load_dwordx4 v[14:17], v[24:25], off
	v_add_u32_e32 v9, -2, v9
	v_cmp_eq_u32_e32 vcc, 0, v9
	s_or_b64 s[6:7], vcc, s[6:7]
	v_add_co_u32_e32 v18, vcc, s12, v18
	v_addc_co_u32_e32 v19, vcc, v8, v19, vcc
	v_add_u32_e32 v3, 2, v3
	v_add_u32_e32 v4, 2, v4
	v_add_co_u32_e32 v20, vcc, s12, v20
	v_addc_co_u32_e32 v21, vcc, v8, v21, vcc
	s_waitcnt vmcnt(1)
	global_store_dwordx4 v[18:19], v[10:13], off
	s_waitcnt vmcnt(1)
	global_store_dwordx4 v[20:21], v[14:17], off
	s_andn2_b64 exec, exec, s[6:7]
	s_cbranch_execnz .LBB15_116
; %bb.117:
	s_or_b64 exec, exec, s[6:7]
	v_cmp_ne_u32_e32 vcc, v5, v6
	v_add_u32_e32 v2, v0, v6
	s_orn2_b64 s[6:7], vcc, exec
.LBB15_118:
	s_or_b64 exec, exec, s[4:5]
	s_and_b64 exec, exec, s[6:7]
	s_cbranch_execz .LBB15_121
; %bb.119:
	s_add_u32 s4, s16, s18
	s_addc_u32 s5, s17, s19
	v_mov_b32_e32 v3, 0
	v_lshlrev_b64 v[4:5], 4, v[2:3]
	s_add_u32 s4, s14, s4
	s_addc_u32 s5, s15, s5
	s_lshl_b32 s6, s47, 4
	v_mov_b32_e32 v3, s5
	v_add_co_u32_e32 v1, vcc, s4, v4
	s_add_u32 s4, s10, s22
	v_addc_co_u32_e32 v3, vcc, v3, v5, vcc
	s_addc_u32 s5, s11, s23
	v_mov_b32_e32 v6, s5
	v_add_co_u32_e32 v4, vcc, s4, v4
	v_addc_co_u32_e32 v5, vcc, v6, v5, vcc
	s_mov_b64 s[4:5], 0
	v_mov_b32_e32 v6, s1
.LBB15_120:                             ; =>This Inner Loop Header: Depth=1
	v_add_co_u32_e32 v7, vcc, s0, v4
	v_addc_co_u32_e32 v8, vcc, v5, v6, vcc
	global_load_dwordx4 v[7:10], v[7:8], off
	v_add_co_u32_e32 v11, vcc, s0, v1
	v_addc_co_u32_e32 v12, vcc, v3, v6, vcc
	v_add_co_u32_e32 v1, vcc, s6, v1
	v_addc_co_u32_e32 v3, vcc, 0, v3, vcc
	v_add_co_u32_e32 v4, vcc, s6, v4
	v_add_u32_e32 v2, s47, v2
	v_addc_co_u32_e32 v5, vcc, 0, v5, vcc
	v_cmp_le_i32_e32 vcc, s21, v2
	s_or_b64 s[4:5], vcc, s[4:5]
	s_waitcnt vmcnt(0)
	global_store_dwordx4 v[11:12], v[7:10], off
	s_andn2_b64 exec, exec, s[4:5]
	s_cbranch_execnz .LBB15_120
.LBB15_121:
	s_or_b64 exec, exec, s[2:3]
	v_lshl_add_u32 v1, s21, 3, v0
	v_cmp_gt_i32_e32 vcc, s8, v1
	s_and_saveexec_b64 s[2:3], vcc
	s_cbranch_execz .LBB15_129
; %bb.122:
	v_add_u32_e32 v2, 1, v1
	v_max_i32_e32 v2, s8, v2
	s_and_b32 s4, s47, 0xffff
	v_sub_u32_e32 v4, v2, v1
	s_cmp_eq_u32 s4, 1
	v_cmp_lt_u32_e32 vcc, 3, v4
	s_cselect_b64 s[4:5], -1, 0
	s_and_b64 s[10:11], vcc, s[4:5]
	s_mov_b64 s[6:7], -1
	s_and_saveexec_b64 s[4:5], s[10:11]
	s_cbranch_execz .LBB15_126
; %bb.123:
	v_and_b32_e32 v5, -4, v4
	s_mov_b64 s[6:7], 0
	v_mov_b32_e32 v6, s20
	v_mov_b32_e32 v7, s13
	;; [unrolled: 1-line block ×4, first 2 shown]
.LBB15_124:                             ; =>This Inner Loop Header: Depth=1
	v_ashrrev_i32_e32 v3, 31, v2
	v_lshlrev_b64 v[9:10], 1, v[2:3]
	v_add_u32_e32 v8, -4, v8
	v_add_co_u32_e32 v11, vcc, s9, v9
	v_addc_co_u32_e32 v12, vcc, v7, v10, vcc
	global_load_dwordx2 v[11:12], v[11:12], off
	v_cmp_eq_u32_e32 vcc, 0, v8
	s_or_b64 s[6:7], vcc, s[6:7]
	v_add_co_u32_e32 v9, vcc, s12, v9
	v_addc_co_u32_e32 v10, vcc, v6, v10, vcc
	v_add_u32_e32 v2, 4, v2
	s_waitcnt vmcnt(0)
	global_store_dwordx2 v[9:10], v[11:12], off
	s_andn2_b64 exec, exec, s[6:7]
	s_cbranch_execnz .LBB15_124
; %bb.125:
	s_or_b64 exec, exec, s[6:7]
	v_cmp_ne_u32_e32 vcc, v4, v5
	v_add_u32_e32 v1, v1, v5
	s_orn2_b64 s[6:7], vcc, exec
.LBB15_126:
	s_or_b64 exec, exec, s[4:5]
	s_and_b64 exec, exec, s[6:7]
	s_cbranch_execz .LBB15_129
; %bb.127:
	v_ashrrev_i32_e32 v2, 31, v1
	v_lshlrev_b64 v[2:3], 1, v[1:2]
	v_mov_b32_e32 v4, s1
	v_add_co_u32_e32 v2, vcc, s0, v2
	v_addc_co_u32_e32 v3, vcc, v4, v3, vcc
	s_lshl_b32 s4, s47, 1
	s_mov_b64 s[0:1], 0
	v_mov_b32_e32 v4, s49
	v_mov_b32_e32 v5, s48
.LBB15_128:                             ; =>This Inner Loop Header: Depth=1
	v_add_co_u32_e32 v6, vcc, s33, v2
	v_addc_co_u32_e32 v7, vcc, v5, v3, vcc
	global_load_ushort v8, v[6:7], off
	v_add_co_u32_e32 v6, vcc, s46, v2
	v_addc_co_u32_e32 v7, vcc, v4, v3, vcc
	v_add_co_u32_e32 v2, vcc, s4, v2
	v_add_u32_e32 v1, s47, v1
	v_addc_co_u32_e32 v3, vcc, 0, v3, vcc
	v_cmp_le_i32_e32 vcc, s8, v1
	s_or_b64 s[0:1], vcc, s[0:1]
	s_waitcnt vmcnt(0)
	global_store_short v[6:7], v8, off
	s_andn2_b64 exec, exec, s[0:1]
	s_cbranch_execnz .LBB15_128
.LBB15_129:
	s_or_b64 exec, exec, s[2:3]
	s_mov_b64 s[2:3], 0
.LBB15_130:
	s_and_b64 vcc, exec, s[2:3]
	s_cbranch_vccz .LBB15_139
; %bb.131:
	s_ashr_i32 s4, s24, 3
	v_cmp_gt_i32_e32 vcc, s4, v0
	s_and_saveexec_b64 s[0:1], vcc
	s_cbranch_execz .LBB15_139
; %bb.132:
	v_add_u32_e32 v1, 1, v0
	v_max_i32_e32 v2, s4, v1
	s_and_b32 s0, s47, 0xffff
	v_sub_u32_e32 v5, v2, v0
	s_cmp_eq_u32 s0, 1
	v_cmp_lt_u32_e32 vcc, 1, v5
	s_cselect_b64 s[0:1], -1, 0
	s_and_b64 s[6:7], vcc, s[0:1]
	s_mov_b64 s[2:3], -1
	s_and_saveexec_b64 s[0:1], s[6:7]
	s_cbranch_execz .LBB15_136
; %bb.133:
	v_and_b32_e32 v6, -2, v5
	v_mov_b32_e32 v4, v1
	s_mov_b64 s[2:3], 0
	v_mov_b32_e32 v2, 0
	v_mov_b32_e32 v7, s48
	;; [unrolled: 1-line block ×5, first 2 shown]
.LBB15_134:                             ; =>This Inner Loop Header: Depth=1
	v_mov_b32_e32 v1, v3
	v_lshlrev_b64 v[18:19], 4, v[1:2]
	v_mov_b32_e32 v1, v4
	v_lshlrev_b64 v[20:21], 4, v[1:2]
	v_add_co_u32_e32 v22, vcc, s33, v18
	v_addc_co_u32_e32 v23, vcc, v7, v19, vcc
	v_add_co_u32_e32 v24, vcc, s33, v20
	v_addc_co_u32_e32 v25, vcc, v7, v21, vcc
	global_load_dwordx4 v[10:13], v[22:23], off
	global_load_dwordx4 v[14:17], v[24:25], off
	v_add_u32_e32 v9, -2, v9
	v_cmp_eq_u32_e32 vcc, 0, v9
	s_or_b64 s[2:3], vcc, s[2:3]
	v_add_co_u32_e32 v18, vcc, s46, v18
	v_addc_co_u32_e32 v19, vcc, v8, v19, vcc
	v_add_u32_e32 v3, 2, v3
	v_add_u32_e32 v4, 2, v4
	v_add_co_u32_e32 v20, vcc, s46, v20
	v_addc_co_u32_e32 v21, vcc, v8, v21, vcc
	s_waitcnt vmcnt(1)
	global_store_dwordx4 v[18:19], v[10:13], off
	s_waitcnt vmcnt(1)
	global_store_dwordx4 v[20:21], v[14:17], off
	s_andn2_b64 exec, exec, s[2:3]
	s_cbranch_execnz .LBB15_134
; %bb.135:
	s_or_b64 exec, exec, s[2:3]
	v_cmp_ne_u32_e32 vcc, v5, v6
	v_add_u32_e32 v0, v0, v6
	s_orn2_b64 s[2:3], vcc, exec
.LBB15_136:
	s_or_b64 exec, exec, s[0:1]
	s_and_b64 exec, exec, s[2:3]
	s_cbranch_execz .LBB15_139
; %bb.137:
	v_mov_b32_e32 v1, 0
	v_lshlrev_b64 v[1:2], 4, v[0:1]
	s_lshl_b32 s2, s47, 4
	s_mov_b64 s[0:1], 0
	v_mov_b32_e32 v3, s48
	v_mov_b32_e32 v4, s49
.LBB15_138:                             ; =>This Inner Loop Header: Depth=1
	v_add_co_u32_e32 v5, vcc, s33, v1
	v_addc_co_u32_e32 v6, vcc, v3, v2, vcc
	global_load_dwordx4 v[5:8], v[5:6], off
	v_add_co_u32_e32 v9, vcc, s46, v1
	v_addc_co_u32_e32 v10, vcc, v4, v2, vcc
	v_add_co_u32_e32 v1, vcc, s2, v1
	v_add_u32_e32 v0, s47, v0
	v_addc_co_u32_e32 v2, vcc, 0, v2, vcc
	v_cmp_le_i32_e32 vcc, s4, v0
	s_or_b64 s[0:1], vcc, s[0:1]
	s_waitcnt vmcnt(0)
	global_store_dwordx4 v[9:10], v[5:8], off
	s_andn2_b64 exec, exec, s[0:1]
	s_cbranch_execnz .LBB15_138
.LBB15_139:
	s_endpgm
.LBB15_140:
                                        ; implicit-def: $sgpr2_sgpr3
	s_branch .LBB15_3
	.section	.rodata,"a",@progbits
	.p2align	6, 0x0
	.amdhsa_kernel _ZN4vllm30reshape_and_cache_flash_kernelIttLNS_18Fp8KVCacheDataTypeE0EEEvPKT_S4_PT0_S6_PKlllllliiiPKfSA_
		.amdhsa_group_segment_fixed_size 0
		.amdhsa_private_segment_fixed_size 0
		.amdhsa_kernarg_size 368
		.amdhsa_user_sgpr_count 6
		.amdhsa_user_sgpr_private_segment_buffer 1
		.amdhsa_user_sgpr_dispatch_ptr 0
		.amdhsa_user_sgpr_queue_ptr 0
		.amdhsa_user_sgpr_kernarg_segment_ptr 1
		.amdhsa_user_sgpr_dispatch_id 0
		.amdhsa_user_sgpr_flat_scratch_init 0
		.amdhsa_user_sgpr_private_segment_size 0
		.amdhsa_uses_dynamic_stack 0
		.amdhsa_system_sgpr_private_segment_wavefront_offset 0
		.amdhsa_system_sgpr_workgroup_id_x 1
		.amdhsa_system_sgpr_workgroup_id_y 0
		.amdhsa_system_sgpr_workgroup_id_z 0
		.amdhsa_system_sgpr_workgroup_info 0
		.amdhsa_system_vgpr_workitem_id 0
		.amdhsa_next_free_vgpr 54
		.amdhsa_next_free_sgpr 62
		.amdhsa_reserve_vcc 1
		.amdhsa_reserve_flat_scratch 0
		.amdhsa_float_round_mode_32 0
		.amdhsa_float_round_mode_16_64 0
		.amdhsa_float_denorm_mode_32 3
		.amdhsa_float_denorm_mode_16_64 3
		.amdhsa_dx10_clamp 1
		.amdhsa_ieee_mode 1
		.amdhsa_fp16_overflow 0
		.amdhsa_exception_fp_ieee_invalid_op 0
		.amdhsa_exception_fp_denorm_src 0
		.amdhsa_exception_fp_ieee_div_zero 0
		.amdhsa_exception_fp_ieee_overflow 0
		.amdhsa_exception_fp_ieee_underflow 0
		.amdhsa_exception_fp_ieee_inexact 0
		.amdhsa_exception_int_div_zero 0
	.end_amdhsa_kernel
	.section	.text._ZN4vllm30reshape_and_cache_flash_kernelIttLNS_18Fp8KVCacheDataTypeE0EEEvPKT_S4_PT0_S6_PKlllllliiiPKfSA_,"axG",@progbits,_ZN4vllm30reshape_and_cache_flash_kernelIttLNS_18Fp8KVCacheDataTypeE0EEEvPKT_S4_PT0_S6_PKlllllliiiPKfSA_,comdat
.Lfunc_end15:
	.size	_ZN4vllm30reshape_and_cache_flash_kernelIttLNS_18Fp8KVCacheDataTypeE0EEEvPKT_S4_PT0_S6_PKlllllliiiPKfSA_, .Lfunc_end15-_ZN4vllm30reshape_and_cache_flash_kernelIttLNS_18Fp8KVCacheDataTypeE0EEEvPKT_S4_PT0_S6_PKlllllliiiPKfSA_
                                        ; -- End function
	.set _ZN4vllm30reshape_and_cache_flash_kernelIttLNS_18Fp8KVCacheDataTypeE0EEEvPKT_S4_PT0_S6_PKlllllliiiPKfSA_.num_vgpr, 54
	.set _ZN4vllm30reshape_and_cache_flash_kernelIttLNS_18Fp8KVCacheDataTypeE0EEEvPKT_S4_PT0_S6_PKlllllliiiPKfSA_.num_agpr, 0
	.set _ZN4vllm30reshape_and_cache_flash_kernelIttLNS_18Fp8KVCacheDataTypeE0EEEvPKT_S4_PT0_S6_PKlllllliiiPKfSA_.numbered_sgpr, 62
	.set _ZN4vllm30reshape_and_cache_flash_kernelIttLNS_18Fp8KVCacheDataTypeE0EEEvPKT_S4_PT0_S6_PKlllllliiiPKfSA_.num_named_barrier, 0
	.set _ZN4vllm30reshape_and_cache_flash_kernelIttLNS_18Fp8KVCacheDataTypeE0EEEvPKT_S4_PT0_S6_PKlllllliiiPKfSA_.private_seg_size, 0
	.set _ZN4vllm30reshape_and_cache_flash_kernelIttLNS_18Fp8KVCacheDataTypeE0EEEvPKT_S4_PT0_S6_PKlllllliiiPKfSA_.uses_vcc, 1
	.set _ZN4vllm30reshape_and_cache_flash_kernelIttLNS_18Fp8KVCacheDataTypeE0EEEvPKT_S4_PT0_S6_PKlllllliiiPKfSA_.uses_flat_scratch, 0
	.set _ZN4vllm30reshape_and_cache_flash_kernelIttLNS_18Fp8KVCacheDataTypeE0EEEvPKT_S4_PT0_S6_PKlllllliiiPKfSA_.has_dyn_sized_stack, 0
	.set _ZN4vllm30reshape_and_cache_flash_kernelIttLNS_18Fp8KVCacheDataTypeE0EEEvPKT_S4_PT0_S6_PKlllllliiiPKfSA_.has_recursion, 0
	.set _ZN4vllm30reshape_and_cache_flash_kernelIttLNS_18Fp8KVCacheDataTypeE0EEEvPKT_S4_PT0_S6_PKlllllliiiPKfSA_.has_indirect_call, 0
	.section	.AMDGPU.csdata,"",@progbits
; Kernel info:
; codeLenInByte = 6656
; TotalNumSgprs: 66
; NumVgprs: 54
; ScratchSize: 0
; MemoryBound: 0
; FloatMode: 240
; IeeeMode: 1
; LDSByteSize: 0 bytes/workgroup (compile time only)
; SGPRBlocks: 8
; VGPRBlocks: 13
; NumSGPRsForWavesPerEU: 66
; NumVGPRsForWavesPerEU: 54
; Occupancy: 4
; WaveLimiterHint : 1
; COMPUTE_PGM_RSRC2:SCRATCH_EN: 0
; COMPUTE_PGM_RSRC2:USER_SGPR: 6
; COMPUTE_PGM_RSRC2:TRAP_HANDLER: 0
; COMPUTE_PGM_RSRC2:TGID_X_EN: 1
; COMPUTE_PGM_RSRC2:TGID_Y_EN: 0
; COMPUTE_PGM_RSRC2:TGID_Z_EN: 0
; COMPUTE_PGM_RSRC2:TIDIG_COMP_CNT: 0
	.section	.text._ZN4vllm30reshape_and_cache_flash_kernelI14__hip_bfloat16S1_LNS_18Fp8KVCacheDataTypeE0EEEvPKT_S5_PT0_S7_PKlllllliiiPKfSB_,"axG",@progbits,_ZN4vllm30reshape_and_cache_flash_kernelI14__hip_bfloat16S1_LNS_18Fp8KVCacheDataTypeE0EEEvPKT_S5_PT0_S7_PKlllllliiiPKfSB_,comdat
	.protected	_ZN4vllm30reshape_and_cache_flash_kernelI14__hip_bfloat16S1_LNS_18Fp8KVCacheDataTypeE0EEEvPKT_S5_PT0_S7_PKlllllliiiPKfSB_ ; -- Begin function _ZN4vllm30reshape_and_cache_flash_kernelI14__hip_bfloat16S1_LNS_18Fp8KVCacheDataTypeE0EEEvPKT_S5_PT0_S7_PKlllllliiiPKfSB_
	.globl	_ZN4vllm30reshape_and_cache_flash_kernelI14__hip_bfloat16S1_LNS_18Fp8KVCacheDataTypeE0EEEvPKT_S5_PT0_S7_PKlllllliiiPKfSB_
	.p2align	8
	.type	_ZN4vllm30reshape_and_cache_flash_kernelI14__hip_bfloat16S1_LNS_18Fp8KVCacheDataTypeE0EEEvPKT_S5_PT0_S7_PKlllllliiiPKfSB_,@function
_ZN4vllm30reshape_and_cache_flash_kernelI14__hip_bfloat16S1_LNS_18Fp8KVCacheDataTypeE0EEEvPKT_S5_PT0_S7_PKlllllliiiPKfSB_: ; @_ZN4vllm30reshape_and_cache_flash_kernelI14__hip_bfloat16S1_LNS_18Fp8KVCacheDataTypeE0EEEvPKT_S5_PT0_S7_PKlllllliiiPKfSB_
; %bb.0:
	s_load_dwordx2 s[0:1], s[4:5], 0x20
	s_mov_b32 s7, 0
	s_lshl_b64 s[2:3], s[6:7], 3
	s_waitcnt lgkmcnt(0)
	s_add_u32 s0, s0, s2
	s_addc_u32 s1, s1, s3
	s_load_dwordx2 s[0:1], s[0:1], 0x0
	s_waitcnt lgkmcnt(0)
	v_cmp_lt_i64_e64 s[2:3], s[0:1], 0
	s_and_b64 vcc, exec, s[2:3]
	s_cbranch_vccnz .LBB16_139
; %bb.1:
	s_load_dwordx4 s[24:27], s[4:5], 0x50
	s_load_dwordx8 s[8:15], s[4:5], 0x0
	s_waitcnt lgkmcnt(0)
	s_ashr_i32 s27, s26, 31
	s_or_b64 s[2:3], s[0:1], s[26:27]
	s_mov_b32 s2, s7
	s_cmp_lg_u64 s[2:3], 0
	s_cbranch_scc0 .LBB16_140
; %bb.2:
	s_ashr_i32 s2, s27, 31
	s_add_u32 s16, s26, s2
	s_mov_b32 s3, s2
	s_addc_u32 s17, s27, s2
	s_xor_b64 s[18:19], s[16:17], s[2:3]
	v_cvt_f32_u32_e32 v1, s18
	v_cvt_f32_u32_e32 v2, s19
	s_sub_u32 s7, 0, s18
	s_subb_u32 s22, 0, s19
	v_madmk_f32 v1, v2, 0x4f800000, v1
	v_rcp_f32_e32 v1, v1
	v_mul_f32_e32 v1, 0x5f7ffffc, v1
	v_mul_f32_e32 v2, 0x2f800000, v1
	v_trunc_f32_e32 v2, v2
	v_madmk_f32 v1, v2, 0xcf800000, v1
	v_cvt_u32_f32_e32 v2, v2
	v_cvt_u32_f32_e32 v1, v1
	v_readfirstlane_b32 s23, v2
	v_readfirstlane_b32 s20, v1
	s_mul_i32 s21, s7, s23
	s_mul_hi_u32 s29, s7, s20
	s_mul_i32 s28, s22, s20
	s_add_i32 s21, s29, s21
	s_add_i32 s21, s21, s28
	s_mul_i32 s30, s7, s20
	s_mul_i32 s29, s20, s21
	s_mul_hi_u32 s31, s20, s30
	s_mul_hi_u32 s28, s20, s21
	s_add_u32 s29, s31, s29
	s_addc_u32 s28, 0, s28
	s_mul_hi_u32 s33, s23, s30
	s_mul_i32 s30, s23, s30
	s_add_u32 s29, s29, s30
	s_mul_hi_u32 s31, s23, s21
	s_addc_u32 s28, s28, s33
	s_addc_u32 s29, s31, 0
	s_mul_i32 s21, s23, s21
	s_add_u32 s21, s28, s21
	s_addc_u32 s28, 0, s29
	s_add_u32 s29, s20, s21
	s_cselect_b64 s[20:21], -1, 0
	s_cmp_lg_u64 s[20:21], 0
	s_addc_u32 s23, s23, s28
	s_mul_i32 s20, s7, s23
	s_mul_hi_u32 s21, s7, s29
	s_add_i32 s20, s21, s20
	s_mul_i32 s22, s22, s29
	s_add_i32 s20, s20, s22
	s_mul_i32 s7, s7, s29
	s_mul_hi_u32 s22, s23, s7
	s_mul_i32 s28, s23, s7
	s_mul_i32 s31, s29, s20
	s_mul_hi_u32 s7, s29, s7
	s_mul_hi_u32 s30, s29, s20
	s_add_u32 s7, s7, s31
	s_addc_u32 s30, 0, s30
	s_add_u32 s7, s7, s28
	s_mul_hi_u32 s21, s23, s20
	s_addc_u32 s7, s30, s22
	s_addc_u32 s21, s21, 0
	s_mul_i32 s20, s23, s20
	s_add_u32 s7, s7, s20
	s_addc_u32 s22, 0, s21
	s_add_u32 s7, s29, s7
	s_cselect_b64 s[20:21], -1, 0
	s_cmp_lg_u64 s[20:21], 0
	s_addc_u32 s28, s23, s22
	s_ashr_i32 s20, s1, 31
	s_add_u32 s22, s0, s20
	s_mov_b32 s21, s20
	s_addc_u32 s23, s1, s20
	s_xor_b64 s[22:23], s[22:23], s[20:21]
	s_mul_i32 s30, s22, s28
	s_mul_hi_u32 s31, s22, s7
	s_mul_hi_u32 s29, s22, s28
	s_add_u32 s30, s31, s30
	s_addc_u32 s29, 0, s29
	s_mul_hi_u32 s33, s23, s7
	s_mul_i32 s7, s23, s7
	s_add_u32 s7, s30, s7
	s_mul_hi_u32 s31, s23, s28
	s_addc_u32 s7, s29, s33
	s_addc_u32 s29, s31, 0
	s_mul_i32 s28, s23, s28
	s_add_u32 s7, s7, s28
	s_addc_u32 s33, 0, s29
	s_mul_i32 s28, s18, s33
	s_mul_hi_u32 s29, s18, s7
	s_add_i32 s28, s29, s28
	s_mul_i32 s29, s19, s7
	s_add_i32 s34, s28, s29
	s_sub_i32 s30, s23, s34
	s_mul_i32 s28, s18, s7
	s_sub_u32 s22, s22, s28
	s_cselect_b64 s[28:29], -1, 0
	s_cmp_lg_u64 s[28:29], 0
	s_subb_u32 s35, s30, s19
	s_sub_u32 s36, s22, s18
	s_cselect_b64 s[30:31], -1, 0
	s_cmp_lg_u64 s[30:31], 0
	s_subb_u32 s30, s35, 0
	s_cmp_ge_u32 s30, s19
	s_cselect_b32 s31, -1, 0
	s_cmp_ge_u32 s36, s18
	s_cselect_b32 s35, -1, 0
	s_cmp_eq_u32 s30, s19
	s_cselect_b32 s30, s35, s31
	s_add_u32 s31, s7, 1
	s_addc_u32 s35, s33, 0
	s_add_u32 s36, s7, 2
	s_addc_u32 s37, s33, 0
	s_cmp_lg_u32 s30, 0
	s_cselect_b32 s30, s36, s31
	s_cselect_b32 s31, s37, s35
	s_cmp_lg_u64 s[28:29], 0
	s_subb_u32 s23, s23, s34
	s_cmp_ge_u32 s23, s19
	s_cselect_b32 s28, -1, 0
	s_cmp_ge_u32 s22, s18
	s_cselect_b32 s18, -1, 0
	s_cmp_eq_u32 s23, s19
	s_cselect_b32 s18, s18, s28
	s_cmp_lg_u32 s18, 0
	s_cselect_b32 s19, s31, s33
	s_cselect_b32 s18, s30, s7
	s_xor_b64 s[2:3], s[20:21], s[2:3]
	s_xor_b64 s[18:19], s[18:19], s[2:3]
	s_sub_u32 s2, s18, s2
	s_subb_u32 s3, s19, s3
	s_cbranch_execnz .LBB16_4
.LBB16_3:
	v_cvt_f32_u32_e32 v1, s26
	s_sub_i32 s2, 0, s26
	s_mov_b32 s3, 0
	v_rcp_iflag_f32_e32 v1, v1
	v_mul_f32_e32 v1, 0x4f7ffffe, v1
	v_cvt_u32_f32_e32 v1, v1
	v_readfirstlane_b32 s7, v1
	s_mul_i32 s2, s2, s7
	s_mul_hi_u32 s2, s7, s2
	s_add_i32 s7, s7, s2
	s_mul_hi_u32 s2, s0, s7
	s_mul_i32 s16, s2, s26
	s_sub_i32 s16, s0, s16
	s_add_i32 s7, s2, 1
	s_sub_i32 s17, s16, s26
	s_cmp_ge_u32 s16, s26
	s_cselect_b32 s2, s7, s2
	s_cselect_b32 s16, s17, s16
	s_add_i32 s7, s2, 1
	s_cmp_ge_u32 s16, s26
	s_cselect_b32 s2, s7, s2
.LBB16_4:
	s_load_dwordx8 s[16:23], s[4:5], 0x28
	s_load_dwordx2 s[28:29], s[4:5], 0x48
	s_mul_i32 s7, s2, s27
	s_mul_hi_u32 s27, s2, s26
	s_add_i32 s7, s27, s7
	s_mul_i32 s27, s3, s26
	s_add_i32 s7, s7, s27
	s_mul_i32 s26, s2, s26
	s_sub_u32 s30, s0, s26
	s_subb_u32 s7, s1, s7
	s_waitcnt lgkmcnt(0)
	s_mul_i32 s0, s23, s6
	s_mul_hi_u32 s1, s22, s6
	s_add_i32 s1, s1, s0
	s_mul_i32 s0, s22, s6
	s_lshl_b64 s[26:27], s[0:1], 1
	s_add_u32 s50, s8, s26
	s_mul_i32 s0, s29, s6
	s_mul_hi_u32 s1, s28, s6
	s_addc_u32 s51, s9, s27
	s_add_i32 s1, s1, s0
	s_mul_i32 s0, s28, s6
	s_lshl_b64 s[22:23], s[0:1], 1
	s_add_u32 s33, s10, s22
	s_mul_i32 s0, s2, s17
	s_mul_hi_u32 s1, s2, s16
	s_addc_u32 s48, s11, s23
	s_add_i32 s0, s1, s0
	s_mul_i32 s1, s3, s16
	s_add_i32 s1, s0, s1
	s_mul_i32 s0, s2, s16
	s_lshl_b64 s[16:17], s[0:1], 1
	s_add_u32 s2, s12, s16
	s_mul_i32 s0, s30, s19
	s_mul_hi_u32 s1, s30, s18
	s_addc_u32 s3, s13, s17
	s_add_i32 s0, s1, s0
	s_mul_i32 s7, s7, s18
	s_add_i32 s1, s0, s7
	s_mul_i32 s0, s30, s18
	s_lshl_b64 s[18:19], s[0:1], 1
	s_load_dword s4, s[4:5], 0x7c
	s_add_u32 s52, s2, s18
	s_addc_u32 s53, s3, s19
	s_add_u32 s0, s14, s16
	s_addc_u32 s1, s15, s17
	;; [unrolled: 2-line block ×3, first 2 shown]
	s_ashr_i32 s1, s25, 31
	s_mov_b32 s0, s25
	s_waitcnt lgkmcnt(0)
	s_and_b32 s47, s4, 0xffff
	s_cmp_lg_u64 s[20:21], s[0:1]
	s_mov_b64 s[0:1], -1
	s_cbranch_scc0 .LBB16_77
; %bb.5:
	v_lshrrev_b32_e32 v27, 5, v0
	v_cmp_gt_i32_e32 vcc, s24, v27
	s_and_saveexec_b64 s[28:29], vcc
	s_cbranch_execz .LBB16_76
; %bb.6:
	s_lshr_b32 s54, s47, 5
	s_and_b32 s0, s25, 7
	v_mad_u64_u32 v[8:9], s[2:3], s20, v27, 0
	v_and_b32_e32 v1, 31, v0
	s_cmp_eq_u32 s0, 0
	s_cselect_b64 s[6:7], -1, 0
	s_ashr_i32 s55, s25, 3
	v_not_b32_e32 v28, v1
	v_add_u32_e32 v3, s55, v28
	v_mov_b32_e32 v4, 0
	v_lshrrev_b32_e32 v5, 5, v3
	v_cmp_lt_u32_e64 s[2:3], 31, v3
	v_mov_b32_e32 v3, v9
	v_mad_u64_u32 v[9:10], s[4:5], s21, v27, v[3:4]
	s_add_u32 s30, s18, s16
	s_addc_u32 s31, s19, s17
	v_lshlrev_b64 v[8:9], 1, v[8:9]
	v_mov_b32_e32 v3, s31
	v_add_co_u32_e32 v8, vcc, s30, v8
	s_mul_i32 s30, s21, s54
	s_mul_hi_u32 s31, s20, s54
	s_add_i32 s31, s31, s30
	s_mul_i32 s30, s20, s54
	v_addc_co_u32_e32 v3, vcc, v3, v9, vcc
	s_lshl_b64 s[30:31], s[30:31], 1
	v_add_u32_e32 v11, 1, v5
	v_mov_b32_e32 v10, s13
	v_add_co_u32_e32 v9, vcc, s12, v8
	s_add_u32 s56, s8, s26
	v_mul_lo_u32 v13, s25, v27
	v_and_b32_e32 v29, 0xffffffe, v11
	v_addc_co_u32_e32 v10, vcc, v10, v3, vcc
	s_addc_u32 s57, s9, s27
	v_cmp_ne_u32_e64 s[4:5], v11, v29
	v_mov_b32_e32 v12, s15
	v_add_co_u32_e32 v11, vcc, s14, v8
	s_add_u32 s59, s10, s22
	v_cmp_gt_i32_e64 s[0:1], s55, v1
	v_mov_b32_e32 v2, v4
	v_or_b32_e32 v6, 32, v1
	v_mov_b32_e32 v5, v1
	v_lshl_or_b32 v7, v29, 5, v1
	v_addc_co_u32_e32 v12, vcc, v12, v3, vcc
	s_mul_i32 s58, s25, s54
	s_addc_u32 s60, s11, s23
	s_mov_b64 s[34:35], 0
	s_xor_b64 s[36:37], s[6:7], -1
	s_movk_i32 s61, 0x5f
	v_mov_b32_e32 v30, s57
	v_mov_b32_e32 v31, s51
	s_branch .LBB16_9
.LBB16_7:                               ;   in Loop: Header=BB16_9 Depth=1
	s_or_b64 exec, exec, s[40:41]
.LBB16_8:                               ;   in Loop: Header=BB16_9 Depth=1
	s_or_b64 exec, exec, s[38:39]
	v_mov_b32_e32 v3, s31
	v_add_co_u32_e32 v9, vcc, s30, v9
	v_add_u32_e32 v27, s54, v27
	v_addc_co_u32_e32 v10, vcc, v10, v3, vcc
	v_cmp_le_i32_e32 vcc, s24, v27
	s_or_b64 s[34:35], vcc, s[34:35]
	v_add_co_u32_e32 v11, vcc, s30, v11
	v_add_u32_e32 v13, s58, v13
	v_addc_co_u32_e32 v12, vcc, v12, v3, vcc
	s_andn2_b64 exec, exec, s[34:35]
	s_cbranch_execz .LBB16_76
.LBB16_9:                               ; =>This Loop Header: Depth=1
                                        ;     Child Loop BB16_15 Depth 2
                                        ;     Child Loop BB16_21 Depth 2
	;; [unrolled: 1-line block ×12, first 2 shown]
	v_mul_lo_u32 v16, v27, s25
	v_mad_u64_u32 v[22:23], s[6:7], s20, v27, 0
	v_ashrrev_i32_e32 v14, 31, v13
	v_ashrrev_i32_e32 v17, 31, v16
	v_mov_b32_e32 v3, v23
	v_lshlrev_b64 v[18:19], 1, v[16:17]
	v_mad_u64_u32 v[16:17], s[6:7], s21, v27, v[3:4]
	v_lshlrev_b64 v[14:15], 1, v[13:14]
	v_add_co_u32_e32 v20, vcc, s56, v14
	v_addc_co_u32_e32 v21, vcc, v30, v15, vcc
	v_mov_b32_e32 v23, v16
	v_add_co_u32_e32 v8, vcc, s50, v18
	v_lshlrev_b64 v[16:17], 1, v[22:23]
	v_addc_co_u32_e32 v26, vcc, v31, v19, vcc
	v_and_b32_e32 v3, 15, v8
	v_mov_b32_e32 v22, s53
	v_cmp_ne_u64_e32 vcc, 0, v[3:4]
	v_add_co_u32_e64 v34, s[6:7], s52, v16
	v_addc_co_u32_e64 v35, s[6:7], v22, v17, s[6:7]
	s_or_b64 s[6:7], s[36:37], vcc
	s_and_saveexec_b64 s[38:39], s[6:7]
	s_xor_b64 s[38:39], exec, s[38:39]
	s_cbranch_execz .LBB16_31
; %bb.10:                               ;   in Loop: Header=BB16_9 Depth=1
	v_sub_u32_e32 v3, 0, v8
	v_bfe_u32 v3, v3, 1, 3
	v_min_i32_e32 v24, s25, v3
	v_cmp_lt_i32_e32 vcc, v1, v24
	s_and_saveexec_b64 s[6:7], vcc
	s_cbranch_execz .LBB16_12
; %bb.11:                               ;   in Loop: Header=BB16_9 Depth=1
	v_lshlrev_b32_e32 v3, 1, v1
	v_add_co_u32_e32 v22, vcc, v8, v3
	v_addc_co_u32_e32 v23, vcc, 0, v26, vcc
	global_load_ushort v25, v[22:23], off
	v_add_co_u32_e32 v22, vcc, v34, v3
	v_addc_co_u32_e32 v23, vcc, 0, v35, vcc
	s_waitcnt vmcnt(0)
	global_store_short v[22:23], v25, off
.LBB16_12:                              ;   in Loop: Header=BB16_9 Depth=1
	s_or_b64 exec, exec, s[6:7]
	v_ashrrev_i32_e32 v25, 31, v24
	v_lshlrev_b64 v[22:23], 1, v[24:25]
	v_add_co_u32_e32 v32, vcc, v8, v22
	v_sub_u32_e32 v8, s25, v24
	v_ashrrev_i32_e32 v3, 31, v8
	v_addc_co_u32_e32 v33, vcc, v26, v23, vcc
	v_lshrrev_b32_e32 v3, 29, v3
	v_add_co_u32_e32 v34, vcc, v34, v22
	v_add_u32_e32 v3, v8, v3
	v_addc_co_u32_e32 v35, vcc, v35, v23, vcc
	v_ashrrev_i32_e32 v26, 3, v3
	v_cmp_lt_i32_e32 vcc, v1, v26
	s_and_saveexec_b64 s[40:41], vcc
	s_cbranch_execz .LBB16_22
; %bb.13:                               ;   in Loop: Header=BB16_9 Depth=1
	v_add_u32_e32 v36, v26, v28
	v_mov_b32_e32 v25, v2
	v_cmp_lt_u32_e32 vcc, 31, v36
	s_mov_b64 s[42:43], -1
	v_mov_b32_e32 v3, v1
	v_mov_b32_e32 v24, v1
	s_and_saveexec_b64 s[6:7], vcc
	s_cbranch_execz .LBB16_19
; %bb.14:                               ;   in Loop: Header=BB16_9 Depth=1
	v_lshrrev_b32_e32 v3, 5, v36
	v_add_u32_e32 v37, 1, v3
	v_and_b32_e32 v36, 0xffffffe, v37
	v_mov_b32_e32 v25, v6
	s_mov_b64 s[42:43], 0
	v_mov_b32_e32 v38, v36
	v_mov_b32_e32 v24, v5
.LBB16_15:                              ;   Parent Loop BB16_9 Depth=1
                                        ; =>  This Inner Loop Header: Depth=2
	v_mov_b32_e32 v3, v24
	v_lshlrev_b64 v[47:48], 4, v[3:4]
	v_mov_b32_e32 v3, v25
	v_lshlrev_b64 v[49:50], 4, v[3:4]
	v_add_co_u32_e32 v39, vcc, v32, v47
	v_addc_co_u32_e32 v40, vcc, v33, v48, vcc
	v_add_co_u32_e32 v43, vcc, v32, v49
	v_addc_co_u32_e32 v44, vcc, v33, v50, vcc
	global_load_dwordx4 v[39:42], v[39:40], off
	s_nop 0
	global_load_dwordx4 v[43:46], v[43:44], off
	v_add_u32_e32 v38, -2, v38
	v_cmp_eq_u32_e32 vcc, 0, v38
	s_or_b64 s[42:43], vcc, s[42:43]
	v_add_co_u32_e32 v47, vcc, v34, v47
	v_addc_co_u32_e32 v48, vcc, v35, v48, vcc
	v_add_u32_e32 v24, 64, v24
	v_add_u32_e32 v25, 64, v25
	v_add_co_u32_e32 v49, vcc, v34, v49
	v_addc_co_u32_e32 v50, vcc, v35, v50, vcc
	s_waitcnt vmcnt(1)
	global_store_dwordx4 v[47:48], v[39:42], off
	s_waitcnt vmcnt(1)
	global_store_dwordx4 v[49:50], v[43:46], off
	s_andn2_b64 exec, exec, s[42:43]
	s_cbranch_execnz .LBB16_15
; %bb.16:                               ;   in Loop: Header=BB16_9 Depth=1
	s_or_b64 exec, exec, s[42:43]
	v_cmp_ne_u32_e32 vcc, v37, v36
	s_mov_b64 s[42:43], 0
                                        ; implicit-def: $vgpr24_vgpr25
	s_and_saveexec_b64 s[44:45], vcc
; %bb.17:                               ;   in Loop: Header=BB16_9 Depth=1
	v_lshl_or_b32 v3, v36, 5, v1
	v_mov_b32_e32 v25, v4
	s_mov_b64 s[42:43], exec
	v_mov_b32_e32 v24, v3
; %bb.18:                               ;   in Loop: Header=BB16_9 Depth=1
	s_or_b64 exec, exec, s[44:45]
	s_orn2_b64 s[42:43], s[42:43], exec
.LBB16_19:                              ;   in Loop: Header=BB16_9 Depth=1
	s_or_b64 exec, exec, s[6:7]
	s_and_b64 exec, exec, s[42:43]
	s_cbranch_execz .LBB16_22
; %bb.20:                               ;   in Loop: Header=BB16_9 Depth=1
	v_lshlrev_b64 v[36:37], 4, v[24:25]
	v_mov_b32_e32 v38, s57
	v_add_co_u32_e32 v24, vcc, v9, v36
	v_addc_co_u32_e32 v25, vcc, v10, v37, vcc
	v_add_co_u32_e32 v36, vcc, v36, v14
	v_addc_co_u32_e32 v37, vcc, v37, v15, vcc
	;; [unrolled: 2-line block ×3, first 2 shown]
	s_mov_b64 s[42:43], 0
.LBB16_21:                              ;   Parent Loop BB16_9 Depth=1
                                        ; =>  This Inner Loop Header: Depth=2
	v_add_co_u32_e32 v38, vcc, v36, v22
	v_addc_co_u32_e32 v39, vcc, v37, v23, vcc
	global_load_dwordx4 v[38:41], v[38:39], off
	v_add_co_u32_e32 v42, vcc, v24, v22
	v_addc_co_u32_e32 v43, vcc, v25, v23, vcc
	v_add_co_u32_e32 v24, vcc, 0x200, v24
	v_add_u32_e32 v3, 32, v3
	v_addc_co_u32_e32 v25, vcc, 0, v25, vcc
	v_add_co_u32_e32 v36, vcc, 0x200, v36
	v_cmp_ge_i32_e64 s[6:7], v3, v26
	v_addc_co_u32_e32 v37, vcc, 0, v37, vcc
	s_or_b64 s[42:43], s[6:7], s[42:43]
	s_waitcnt vmcnt(0)
	global_store_dwordx4 v[42:43], v[38:41], off
	s_andn2_b64 exec, exec, s[42:43]
	s_cbranch_execnz .LBB16_21
.LBB16_22:                              ;   in Loop: Header=BB16_9 Depth=1
	s_or_b64 exec, exec, s[40:41]
	v_lshlrev_b32_e32 v3, 3, v26
	v_add_u32_e32 v24, v3, v1
	v_cmp_lt_i32_e32 vcc, v24, v8
	s_and_saveexec_b64 s[6:7], vcc
	s_cbranch_execz .LBB16_30
; %bb.23:                               ;   in Loop: Header=BB16_9 Depth=1
	v_add_u32_e32 v25, v6, v3
	v_max_i32_e32 v25, v25, v8
	v_add_u32_e32 v25, v25, v28
	v_sub_u32_e32 v3, v25, v3
	v_cmp_lt_u32_e32 vcc, s61, v3
	s_mov_b64 s[42:43], -1
	s_and_saveexec_b64 s[40:41], vcc
	s_cbranch_execz .LBB16_27
; %bb.24:                               ;   in Loop: Header=BB16_9 Depth=1
	v_lshrrev_b32_e32 v3, 5, v3
	v_add_u32_e32 v3, 1, v3
	v_add_u32_e32 v25, 32, v24
	v_and_b32_e32 v36, 0xffffffc, v3
	v_mov_b32_e32 v26, v25
	s_mov_b64 s[42:43], 0
	v_mov_b32_e32 v37, v36
	v_mov_b32_e32 v25, v24
.LBB16_25:                              ;   Parent Loop BB16_9 Depth=1
                                        ; =>  This Inner Loop Header: Depth=2
	v_ashrrev_i32_e32 v45, 31, v25
	v_mov_b32_e32 v44, v25
	v_lshlrev_b64 v[44:45], 1, v[44:45]
	v_ashrrev_i32_e32 v43, 31, v26
	v_mov_b32_e32 v42, v26
	v_add_u32_e32 v38, 64, v25
	v_lshlrev_b64 v[42:43], 1, v[42:43]
	v_add_co_u32_e32 v46, vcc, v32, v44
	v_ashrrev_i32_e32 v39, 31, v38
	v_addc_co_u32_e32 v47, vcc, v33, v45, vcc
	v_add_u32_e32 v40, 64, v26
	v_lshlrev_b64 v[38:39], 1, v[38:39]
	v_add_co_u32_e32 v48, vcc, v32, v42
	v_ashrrev_i32_e32 v41, 31, v40
	v_addc_co_u32_e32 v49, vcc, v33, v43, vcc
	v_lshlrev_b64 v[40:41], 1, v[40:41]
	v_add_co_u32_e32 v50, vcc, v32, v38
	v_addc_co_u32_e32 v51, vcc, v33, v39, vcc
	v_add_co_u32_e32 v52, vcc, v32, v40
	v_addc_co_u32_e32 v53, vcc, v33, v41, vcc
	global_load_ushort v46, v[46:47], off
	s_nop 0
	global_load_ushort v47, v[48:49], off
	s_nop 0
	global_load_ushort v48, v[50:51], off
	global_load_ushort v49, v[52:53], off
	v_add_u32_e32 v37, -4, v37
	v_cmp_eq_u32_e32 vcc, 0, v37
	s_or_b64 s[42:43], vcc, s[42:43]
	v_add_co_u32_e32 v44, vcc, v34, v44
	v_addc_co_u32_e32 v45, vcc, v35, v45, vcc
	v_add_co_u32_e32 v42, vcc, v34, v42
	v_addc_co_u32_e32 v43, vcc, v35, v43, vcc
	;; [unrolled: 2-line block ×3, first 2 shown]
	v_add_u32_e32 v26, 0x80, v26
	v_add_u32_e32 v25, 0x80, v25
	v_add_co_u32_e32 v40, vcc, v34, v40
	v_addc_co_u32_e32 v41, vcc, v35, v41, vcc
	s_waitcnt vmcnt(3)
	global_store_short v[44:45], v46, off
	s_waitcnt vmcnt(3)
	global_store_short v[42:43], v47, off
	;; [unrolled: 2-line block ×4, first 2 shown]
	s_andn2_b64 exec, exec, s[42:43]
	s_cbranch_execnz .LBB16_25
; %bb.26:                               ;   in Loop: Header=BB16_9 Depth=1
	s_or_b64 exec, exec, s[42:43]
	v_cmp_ne_u32_e32 vcc, v3, v36
	v_lshl_add_u32 v24, v36, 5, v24
	s_orn2_b64 s[42:43], vcc, exec
.LBB16_27:                              ;   in Loop: Header=BB16_9 Depth=1
	s_or_b64 exec, exec, s[40:41]
	s_and_b64 exec, exec, s[42:43]
	s_cbranch_execz .LBB16_30
; %bb.28:                               ;   in Loop: Header=BB16_9 Depth=1
	v_ashrrev_i32_e32 v25, 31, v24
	v_lshlrev_b64 v[25:26], 1, v[24:25]
	s_mov_b64 s[40:41], 0
	v_add_co_u32_e32 v3, vcc, v22, v25
	v_addc_co_u32_e32 v22, vcc, v23, v26, vcc
.LBB16_29:                              ;   Parent Loop BB16_9 Depth=1
                                        ; =>  This Inner Loop Header: Depth=2
	v_add_co_u32_e32 v25, vcc, v20, v3
	v_addc_co_u32_e32 v26, vcc, v21, v22, vcc
	global_load_ushort v23, v[25:26], off
	v_add_co_u32_e32 v25, vcc, v9, v3
	v_addc_co_u32_e32 v26, vcc, v10, v22, vcc
	v_add_co_u32_e32 v3, vcc, 64, v3
	v_add_u32_e32 v24, 32, v24
	v_addc_co_u32_e32 v22, vcc, 0, v22, vcc
	v_cmp_ge_i32_e32 vcc, v24, v8
	s_or_b64 s[40:41], vcc, s[40:41]
	s_waitcnt vmcnt(0)
	global_store_short v[25:26], v23, off
	s_andn2_b64 exec, exec, s[40:41]
	s_cbranch_execnz .LBB16_29
.LBB16_30:                              ;   in Loop: Header=BB16_9 Depth=1
	s_or_b64 exec, exec, s[6:7]
                                        ; implicit-def: $vgpr20_vgpr21
                                        ; implicit-def: $vgpr8
                                        ; implicit-def: $vgpr26
                                        ; implicit-def: $vgpr34
                                        ; implicit-def: $vgpr35
.LBB16_31:                              ;   in Loop: Header=BB16_9 Depth=1
	s_andn2_saveexec_b64 s[38:39], s[38:39]
	s_cbranch_execz .LBB16_43
; %bb.32:                               ;   in Loop: Header=BB16_9 Depth=1
	s_and_saveexec_b64 s[40:41], s[0:1]
	s_cbranch_execz .LBB16_42
; %bb.33:                               ;   in Loop: Header=BB16_9 Depth=1
	v_mov_b32_e32 v23, v2
	s_mov_b64 s[42:43], -1
	v_mov_b32_e32 v3, v1
	v_mov_b32_e32 v22, v1
	s_and_saveexec_b64 s[6:7], s[2:3]
	s_cbranch_execz .LBB16_39
; %bb.34:                               ;   in Loop: Header=BB16_9 Depth=1
	v_mov_b32_e32 v23, v6
	s_mov_b64 s[42:43], 0
	v_mov_b32_e32 v24, v29
	v_mov_b32_e32 v22, v5
.LBB16_35:                              ;   Parent Loop BB16_9 Depth=1
                                        ; =>  This Inner Loop Header: Depth=2
	v_mov_b32_e32 v3, v22
	v_lshlrev_b64 v[32:33], 4, v[3:4]
	v_mov_b32_e32 v3, v23
	v_lshlrev_b64 v[44:45], 4, v[3:4]
	v_add_co_u32_e32 v36, vcc, v8, v32
	v_addc_co_u32_e32 v37, vcc, v26, v33, vcc
	v_add_co_u32_e32 v40, vcc, v8, v44
	v_addc_co_u32_e32 v41, vcc, v26, v45, vcc
	global_load_dwordx4 v[36:39], v[36:37], off
	s_nop 0
	global_load_dwordx4 v[40:43], v[40:41], off
	v_add_u32_e32 v24, -2, v24
	v_cmp_eq_u32_e32 vcc, 0, v24
	s_or_b64 s[42:43], vcc, s[42:43]
	v_add_co_u32_e32 v32, vcc, v34, v32
	v_addc_co_u32_e32 v33, vcc, v35, v33, vcc
	v_add_u32_e32 v22, 64, v22
	v_add_u32_e32 v23, 64, v23
	v_add_co_u32_e32 v44, vcc, v34, v44
	v_addc_co_u32_e32 v45, vcc, v35, v45, vcc
	s_waitcnt vmcnt(1)
	global_store_dwordx4 v[32:33], v[36:39], off
	s_waitcnt vmcnt(1)
	global_store_dwordx4 v[44:45], v[40:43], off
	s_andn2_b64 exec, exec, s[42:43]
	s_cbranch_execnz .LBB16_35
; %bb.36:                               ;   in Loop: Header=BB16_9 Depth=1
	s_or_b64 exec, exec, s[42:43]
	s_mov_b64 s[42:43], 0
                                        ; implicit-def: $vgpr22_vgpr23
	s_and_saveexec_b64 s[44:45], s[4:5]
; %bb.37:                               ;   in Loop: Header=BB16_9 Depth=1
	v_mov_b32_e32 v8, v4
	v_mov_b32_e32 v23, v8
	s_mov_b64 s[42:43], exec
	v_mov_b32_e32 v22, v7
; %bb.38:                               ;   in Loop: Header=BB16_9 Depth=1
	s_or_b64 exec, exec, s[44:45]
	s_orn2_b64 s[42:43], s[42:43], exec
	v_mov_b32_e32 v3, v7
.LBB16_39:                              ;   in Loop: Header=BB16_9 Depth=1
	s_or_b64 exec, exec, s[6:7]
	s_and_b64 exec, exec, s[42:43]
	s_cbranch_execz .LBB16_42
; %bb.40:                               ;   in Loop: Header=BB16_9 Depth=1
	v_lshlrev_b64 v[22:23], 4, v[22:23]
	v_mov_b32_e32 v25, v10
	s_mov_b64 s[42:43], 0
	v_mov_b32_e32 v24, v9
.LBB16_41:                              ;   Parent Loop BB16_9 Depth=1
                                        ; =>  This Inner Loop Header: Depth=2
	v_add_co_u32_e32 v32, vcc, v20, v22
	v_addc_co_u32_e32 v33, vcc, v21, v23, vcc
	global_load_dwordx4 v[32:35], v[32:33], off
	v_add_co_u32_e32 v36, vcc, v24, v22
	v_addc_co_u32_e32 v37, vcc, v25, v23, vcc
	v_add_co_u32_e32 v24, vcc, 0x200, v24
	v_add_u32_e32 v3, 32, v3
	v_addc_co_u32_e32 v25, vcc, 0, v25, vcc
	v_add_co_u32_e32 v20, vcc, 0x200, v20
	v_cmp_le_i32_e64 s[6:7], s55, v3
	v_addc_co_u32_e32 v21, vcc, 0, v21, vcc
	s_or_b64 s[42:43], s[6:7], s[42:43]
	s_waitcnt vmcnt(0)
	global_store_dwordx4 v[36:37], v[32:35], off
	s_andn2_b64 exec, exec, s[42:43]
	s_cbranch_execnz .LBB16_41
.LBB16_42:                              ;   in Loop: Header=BB16_9 Depth=1
	s_or_b64 exec, exec, s[40:41]
.LBB16_43:                              ;   in Loop: Header=BB16_9 Depth=1
	s_or_b64 exec, exec, s[38:39]
	v_mov_b32_e32 v3, s60
	v_add_co_u32_e32 v20, vcc, s59, v14
	v_addc_co_u32_e32 v21, vcc, v3, v15, vcc
	v_mov_b32_e32 v3, s48
	v_add_co_u32_e32 v8, vcc, s33, v18
	v_addc_co_u32_e32 v23, vcc, v3, v19, vcc
	v_and_b32_e32 v3, 15, v8
	v_mov_b32_e32 v18, s49
	v_cmp_ne_u64_e32 vcc, 0, v[3:4]
	v_add_co_u32_e64 v24, s[6:7], s46, v16
	v_addc_co_u32_e64 v25, s[6:7], v18, v17, s[6:7]
	s_or_b64 s[6:7], s[36:37], vcc
	s_and_saveexec_b64 s[38:39], s[6:7]
	s_xor_b64 s[38:39], exec, s[38:39]
	s_cbranch_execz .LBB16_65
; %bb.44:                               ;   in Loop: Header=BB16_9 Depth=1
	v_sub_u32_e32 v3, 0, v8
	v_bfe_u32 v3, v3, 1, 3
	v_min_i32_e32 v18, s25, v3
	v_cmp_lt_i32_e32 vcc, v1, v18
	s_and_saveexec_b64 s[6:7], vcc
	s_cbranch_execz .LBB16_46
; %bb.45:                               ;   in Loop: Header=BB16_9 Depth=1
	v_lshlrev_b32_e32 v3, 1, v1
	v_add_co_u32_e32 v16, vcc, v8, v3
	v_addc_co_u32_e32 v17, vcc, 0, v23, vcc
	global_load_ushort v19, v[16:17], off
	v_add_co_u32_e32 v16, vcc, v24, v3
	v_addc_co_u32_e32 v17, vcc, 0, v25, vcc
	s_waitcnt vmcnt(0)
	global_store_short v[16:17], v19, off
.LBB16_46:                              ;   in Loop: Header=BB16_9 Depth=1
	s_or_b64 exec, exec, s[6:7]
	v_ashrrev_i32_e32 v19, 31, v18
	v_lshlrev_b64 v[16:17], 1, v[18:19]
	v_add_co_u32_e32 v22, vcc, v8, v16
	v_sub_u32_e32 v8, s25, v18
	v_ashrrev_i32_e32 v3, 31, v8
	v_addc_co_u32_e32 v23, vcc, v23, v17, vcc
	v_lshrrev_b32_e32 v3, 29, v3
	v_add_co_u32_e32 v24, vcc, v24, v16
	v_add_u32_e32 v3, v8, v3
	v_addc_co_u32_e32 v25, vcc, v25, v17, vcc
	v_ashrrev_i32_e32 v26, 3, v3
	v_cmp_lt_i32_e32 vcc, v1, v26
	s_and_saveexec_b64 s[40:41], vcc
	s_cbranch_execz .LBB16_56
; %bb.47:                               ;   in Loop: Header=BB16_9 Depth=1
	v_add_u32_e32 v32, v26, v28
	v_mov_b32_e32 v19, v2
	v_cmp_lt_u32_e32 vcc, 31, v32
	s_mov_b64 s[42:43], -1
	v_mov_b32_e32 v3, v1
	v_mov_b32_e32 v18, v1
	s_and_saveexec_b64 s[6:7], vcc
	s_cbranch_execz .LBB16_53
; %bb.48:                               ;   in Loop: Header=BB16_9 Depth=1
	v_lshrrev_b32_e32 v3, 5, v32
	v_add_u32_e32 v33, 1, v3
	v_and_b32_e32 v32, 0xffffffe, v33
	v_mov_b32_e32 v19, v6
	s_mov_b64 s[42:43], 0
	v_mov_b32_e32 v34, v32
	v_mov_b32_e32 v18, v5
.LBB16_49:                              ;   Parent Loop BB16_9 Depth=1
                                        ; =>  This Inner Loop Header: Depth=2
	v_mov_b32_e32 v3, v18
	v_lshlrev_b64 v[43:44], 4, v[3:4]
	v_mov_b32_e32 v3, v19
	v_lshlrev_b64 v[45:46], 4, v[3:4]
	v_add_co_u32_e32 v35, vcc, v22, v43
	v_addc_co_u32_e32 v36, vcc, v23, v44, vcc
	v_add_co_u32_e32 v39, vcc, v22, v45
	v_addc_co_u32_e32 v40, vcc, v23, v46, vcc
	global_load_dwordx4 v[35:38], v[35:36], off
	s_nop 0
	global_load_dwordx4 v[39:42], v[39:40], off
	v_add_u32_e32 v34, -2, v34
	v_cmp_eq_u32_e32 vcc, 0, v34
	s_or_b64 s[42:43], vcc, s[42:43]
	v_add_co_u32_e32 v43, vcc, v24, v43
	v_addc_co_u32_e32 v44, vcc, v25, v44, vcc
	v_add_u32_e32 v18, 64, v18
	v_add_u32_e32 v19, 64, v19
	v_add_co_u32_e32 v45, vcc, v24, v45
	v_addc_co_u32_e32 v46, vcc, v25, v46, vcc
	s_waitcnt vmcnt(1)
	global_store_dwordx4 v[43:44], v[35:38], off
	s_waitcnt vmcnt(1)
	global_store_dwordx4 v[45:46], v[39:42], off
	s_andn2_b64 exec, exec, s[42:43]
	s_cbranch_execnz .LBB16_49
; %bb.50:                               ;   in Loop: Header=BB16_9 Depth=1
	s_or_b64 exec, exec, s[42:43]
	v_cmp_ne_u32_e32 vcc, v33, v32
	s_mov_b64 s[42:43], 0
                                        ; implicit-def: $vgpr18_vgpr19
	s_and_saveexec_b64 s[44:45], vcc
; %bb.51:                               ;   in Loop: Header=BB16_9 Depth=1
	v_lshl_or_b32 v3, v32, 5, v1
	v_mov_b32_e32 v19, v4
	s_mov_b64 s[42:43], exec
	v_mov_b32_e32 v18, v3
; %bb.52:                               ;   in Loop: Header=BB16_9 Depth=1
	s_or_b64 exec, exec, s[44:45]
	s_orn2_b64 s[42:43], s[42:43], exec
.LBB16_53:                              ;   in Loop: Header=BB16_9 Depth=1
	s_or_b64 exec, exec, s[6:7]
	s_and_b64 exec, exec, s[42:43]
	s_cbranch_execz .LBB16_56
; %bb.54:                               ;   in Loop: Header=BB16_9 Depth=1
	v_lshlrev_b64 v[32:33], 4, v[18:19]
	s_mov_b64 s[42:43], 0
	v_add_co_u32_e32 v18, vcc, v11, v32
	v_addc_co_u32_e32 v19, vcc, v12, v33, vcc
	v_add_co_u32_e32 v14, vcc, v32, v14
	v_addc_co_u32_e32 v15, vcc, v33, v15, vcc
	v_mov_b32_e32 v32, s60
	v_add_co_u32_e32 v14, vcc, s59, v14
	v_addc_co_u32_e32 v15, vcc, v32, v15, vcc
.LBB16_55:                              ;   Parent Loop BB16_9 Depth=1
                                        ; =>  This Inner Loop Header: Depth=2
	v_add_co_u32_e32 v32, vcc, v14, v16
	v_addc_co_u32_e32 v33, vcc, v15, v17, vcc
	global_load_dwordx4 v[32:35], v[32:33], off
	v_add_co_u32_e32 v36, vcc, v18, v16
	v_addc_co_u32_e32 v37, vcc, v19, v17, vcc
	v_add_co_u32_e32 v18, vcc, 0x200, v18
	v_add_u32_e32 v3, 32, v3
	v_addc_co_u32_e32 v19, vcc, 0, v19, vcc
	v_add_co_u32_e32 v14, vcc, 0x200, v14
	v_cmp_ge_i32_e64 s[6:7], v3, v26
	v_addc_co_u32_e32 v15, vcc, 0, v15, vcc
	s_or_b64 s[42:43], s[6:7], s[42:43]
	s_waitcnt vmcnt(0)
	global_store_dwordx4 v[36:37], v[32:35], off
	s_andn2_b64 exec, exec, s[42:43]
	s_cbranch_execnz .LBB16_55
.LBB16_56:                              ;   in Loop: Header=BB16_9 Depth=1
	s_or_b64 exec, exec, s[40:41]
	v_lshlrev_b32_e32 v3, 3, v26
	v_add_u32_e32 v14, v3, v1
	v_cmp_lt_i32_e32 vcc, v14, v8
	s_and_saveexec_b64 s[6:7], vcc
	s_cbranch_execz .LBB16_64
; %bb.57:                               ;   in Loop: Header=BB16_9 Depth=1
	v_add_u32_e32 v15, v6, v3
	v_max_i32_e32 v15, v15, v8
	v_add_u32_e32 v15, v15, v28
	v_sub_u32_e32 v3, v15, v3
	v_cmp_lt_u32_e32 vcc, s61, v3
	s_mov_b64 s[42:43], -1
	s_and_saveexec_b64 s[40:41], vcc
	s_cbranch_execz .LBB16_61
; %bb.58:                               ;   in Loop: Header=BB16_9 Depth=1
	v_lshrrev_b32_e32 v3, 5, v3
	v_add_u32_e32 v3, 1, v3
	v_add_u32_e32 v15, 32, v14
	v_and_b32_e32 v26, 0xffffffc, v3
	v_mov_b32_e32 v19, v15
	s_mov_b64 s[42:43], 0
	v_mov_b32_e32 v32, v26
	v_mov_b32_e32 v18, v14
.LBB16_59:                              ;   Parent Loop BB16_9 Depth=1
                                        ; =>  This Inner Loop Header: Depth=2
	v_ashrrev_i32_e32 v40, 31, v18
	v_mov_b32_e32 v39, v18
	v_lshlrev_b64 v[39:40], 1, v[39:40]
	v_ashrrev_i32_e32 v38, 31, v19
	v_mov_b32_e32 v37, v19
	v_add_u32_e32 v33, 64, v18
	v_lshlrev_b64 v[37:38], 1, v[37:38]
	v_add_co_u32_e32 v41, vcc, v22, v39
	v_ashrrev_i32_e32 v34, 31, v33
	v_addc_co_u32_e32 v42, vcc, v23, v40, vcc
	v_add_u32_e32 v35, 64, v19
	v_lshlrev_b64 v[33:34], 1, v[33:34]
	v_add_co_u32_e32 v43, vcc, v22, v37
	v_ashrrev_i32_e32 v36, 31, v35
	v_addc_co_u32_e32 v44, vcc, v23, v38, vcc
	v_lshlrev_b64 v[35:36], 1, v[35:36]
	v_add_co_u32_e32 v45, vcc, v22, v33
	v_addc_co_u32_e32 v46, vcc, v23, v34, vcc
	v_add_co_u32_e32 v47, vcc, v22, v35
	v_addc_co_u32_e32 v48, vcc, v23, v36, vcc
	global_load_ushort v15, v[41:42], off
	s_nop 0
	global_load_ushort v41, v[43:44], off
	global_load_ushort v42, v[45:46], off
	s_nop 0
	global_load_ushort v43, v[47:48], off
	v_add_u32_e32 v32, -4, v32
	v_cmp_eq_u32_e32 vcc, 0, v32
	s_or_b64 s[42:43], vcc, s[42:43]
	v_add_co_u32_e32 v39, vcc, v24, v39
	v_addc_co_u32_e32 v40, vcc, v25, v40, vcc
	v_add_co_u32_e32 v37, vcc, v24, v37
	v_addc_co_u32_e32 v38, vcc, v25, v38, vcc
	v_add_co_u32_e32 v33, vcc, v24, v33
	v_addc_co_u32_e32 v34, vcc, v25, v34, vcc
	v_add_u32_e32 v19, 0x80, v19
	v_add_u32_e32 v18, 0x80, v18
	v_add_co_u32_e32 v35, vcc, v24, v35
	v_addc_co_u32_e32 v36, vcc, v25, v36, vcc
	s_waitcnt vmcnt(3)
	global_store_short v[39:40], v15, off
	s_waitcnt vmcnt(3)
	global_store_short v[37:38], v41, off
	s_waitcnt vmcnt(3)
	global_store_short v[33:34], v42, off
	s_waitcnt vmcnt(3)
	global_store_short v[35:36], v43, off
	s_andn2_b64 exec, exec, s[42:43]
	s_cbranch_execnz .LBB16_59
; %bb.60:                               ;   in Loop: Header=BB16_9 Depth=1
	s_or_b64 exec, exec, s[42:43]
	v_cmp_ne_u32_e32 vcc, v3, v26
	v_lshl_add_u32 v14, v26, 5, v14
	s_orn2_b64 s[42:43], vcc, exec
.LBB16_61:                              ;   in Loop: Header=BB16_9 Depth=1
	s_or_b64 exec, exec, s[40:41]
	s_and_b64 exec, exec, s[42:43]
	s_cbranch_execz .LBB16_64
; %bb.62:                               ;   in Loop: Header=BB16_9 Depth=1
	v_ashrrev_i32_e32 v15, 31, v14
	v_lshlrev_b64 v[18:19], 1, v[14:15]
	s_mov_b64 s[40:41], 0
	v_add_co_u32_e32 v3, vcc, v16, v18
	v_addc_co_u32_e32 v15, vcc, v17, v19, vcc
.LBB16_63:                              ;   Parent Loop BB16_9 Depth=1
                                        ; =>  This Inner Loop Header: Depth=2
	v_add_co_u32_e32 v16, vcc, v20, v3
	v_addc_co_u32_e32 v17, vcc, v21, v15, vcc
	global_load_ushort v18, v[16:17], off
	v_add_co_u32_e32 v16, vcc, v11, v3
	v_addc_co_u32_e32 v17, vcc, v12, v15, vcc
	v_add_co_u32_e32 v3, vcc, 64, v3
	v_add_u32_e32 v14, 32, v14
	v_addc_co_u32_e32 v15, vcc, 0, v15, vcc
	v_cmp_ge_i32_e32 vcc, v14, v8
	s_or_b64 s[40:41], vcc, s[40:41]
	s_waitcnt vmcnt(0)
	global_store_short v[16:17], v18, off
	s_andn2_b64 exec, exec, s[40:41]
	s_cbranch_execnz .LBB16_63
.LBB16_64:                              ;   in Loop: Header=BB16_9 Depth=1
	s_or_b64 exec, exec, s[6:7]
                                        ; implicit-def: $vgpr20_vgpr21
                                        ; implicit-def: $vgpr8
                                        ; implicit-def: $vgpr23
                                        ; implicit-def: $vgpr24
                                        ; implicit-def: $vgpr25
.LBB16_65:                              ;   in Loop: Header=BB16_9 Depth=1
	s_andn2_saveexec_b64 s[38:39], s[38:39]
	s_cbranch_execz .LBB16_8
; %bb.66:                               ;   in Loop: Header=BB16_9 Depth=1
	s_and_saveexec_b64 s[40:41], s[0:1]
	s_cbranch_execz .LBB16_7
; %bb.67:                               ;   in Loop: Header=BB16_9 Depth=1
	v_mov_b32_e32 v15, v2
	s_mov_b64 s[42:43], -1
	v_mov_b32_e32 v3, v1
	v_mov_b32_e32 v14, v1
	s_and_saveexec_b64 s[6:7], s[2:3]
	s_cbranch_execz .LBB16_73
; %bb.68:                               ;   in Loop: Header=BB16_9 Depth=1
	v_mov_b32_e32 v15, v6
	s_mov_b64 s[42:43], 0
	v_mov_b32_e32 v16, v29
	v_mov_b32_e32 v14, v5
.LBB16_69:                              ;   Parent Loop BB16_9 Depth=1
                                        ; =>  This Inner Loop Header: Depth=2
	v_mov_b32_e32 v3, v14
	v_lshlrev_b64 v[17:18], 4, v[3:4]
	v_mov_b32_e32 v3, v15
	v_lshlrev_b64 v[40:41], 4, v[3:4]
	v_add_co_u32_e32 v32, vcc, v8, v17
	v_addc_co_u32_e32 v33, vcc, v23, v18, vcc
	v_add_co_u32_e32 v36, vcc, v8, v40
	v_addc_co_u32_e32 v37, vcc, v23, v41, vcc
	global_load_dwordx4 v[32:35], v[32:33], off
	s_nop 0
	global_load_dwordx4 v[36:39], v[36:37], off
	v_add_u32_e32 v16, -2, v16
	v_cmp_eq_u32_e32 vcc, 0, v16
	s_or_b64 s[42:43], vcc, s[42:43]
	v_add_co_u32_e32 v17, vcc, v24, v17
	v_addc_co_u32_e32 v18, vcc, v25, v18, vcc
	v_add_u32_e32 v14, 64, v14
	v_add_u32_e32 v15, 64, v15
	v_add_co_u32_e32 v40, vcc, v24, v40
	v_addc_co_u32_e32 v41, vcc, v25, v41, vcc
	s_waitcnt vmcnt(1)
	global_store_dwordx4 v[17:18], v[32:35], off
	s_waitcnt vmcnt(1)
	global_store_dwordx4 v[40:41], v[36:39], off
	s_andn2_b64 exec, exec, s[42:43]
	s_cbranch_execnz .LBB16_69
; %bb.70:                               ;   in Loop: Header=BB16_9 Depth=1
	s_or_b64 exec, exec, s[42:43]
	s_mov_b64 s[42:43], 0
                                        ; implicit-def: $vgpr14_vgpr15
	s_and_saveexec_b64 s[44:45], s[4:5]
; %bb.71:                               ;   in Loop: Header=BB16_9 Depth=1
	v_mov_b32_e32 v8, v4
	v_mov_b32_e32 v15, v8
	s_mov_b64 s[42:43], exec
	v_mov_b32_e32 v14, v7
; %bb.72:                               ;   in Loop: Header=BB16_9 Depth=1
	s_or_b64 exec, exec, s[44:45]
	s_orn2_b64 s[42:43], s[42:43], exec
	v_mov_b32_e32 v3, v7
.LBB16_73:                              ;   in Loop: Header=BB16_9 Depth=1
	s_or_b64 exec, exec, s[6:7]
	s_and_b64 exec, exec, s[42:43]
	s_cbranch_execz .LBB16_7
; %bb.74:                               ;   in Loop: Header=BB16_9 Depth=1
	v_lshlrev_b64 v[14:15], 4, v[14:15]
	v_mov_b32_e32 v17, v12
	s_mov_b64 s[42:43], 0
	v_mov_b32_e32 v16, v11
.LBB16_75:                              ;   Parent Loop BB16_9 Depth=1
                                        ; =>  This Inner Loop Header: Depth=2
	v_add_co_u32_e32 v18, vcc, v20, v14
	v_addc_co_u32_e32 v19, vcc, v21, v15, vcc
	global_load_dwordx4 v[22:25], v[18:19], off
	v_add_co_u32_e32 v18, vcc, v16, v14
	v_addc_co_u32_e32 v19, vcc, v17, v15, vcc
	v_add_co_u32_e32 v16, vcc, 0x200, v16
	v_add_u32_e32 v3, 32, v3
	v_addc_co_u32_e32 v17, vcc, 0, v17, vcc
	v_add_co_u32_e32 v20, vcc, 0x200, v20
	v_cmp_le_i32_e64 s[6:7], s55, v3
	v_addc_co_u32_e32 v21, vcc, 0, v21, vcc
	s_or_b64 s[42:43], s[6:7], s[42:43]
	s_waitcnt vmcnt(0)
	global_store_dwordx4 v[18:19], v[22:25], off
	s_andn2_b64 exec, exec, s[42:43]
	s_cbranch_execnz .LBB16_75
	s_branch .LBB16_7
.LBB16_76:
	s_or_b64 exec, exec, s[28:29]
	s_mov_b64 s[0:1], 0
.LBB16_77:
	s_andn2_b64 vcc, exec, s[0:1]
	s_cbranch_vccnz .LBB16_139
; %bb.78:
	s_and_b32 s0, s50, 15
	s_mov_b32 s1, 0
	s_mul_i32 s24, s25, s24
	s_cmp_lg_u64 s[0:1], 0
	s_cselect_b64 s[2:3], -1, 0
	s_and_b32 s4, s24, 7
	s_cmp_eq_u32 s4, 0
	s_cselect_b64 s[0:1], -1, 0
	s_cmp_lg_u32 s4, 0
	s_cselect_b64 s[4:5], -1, 0
	s_or_b64 s[4:5], s[2:3], s[4:5]
	s_mov_b64 s[2:3], -1
	s_and_b64 vcc, exec, s[4:5]
	s_cbranch_vccz .LBB16_99
; %bb.79:
	s_sub_i32 s2, 0, s50
	s_bfe_u32 s2, s2, 0x30001
	s_min_i32 s4, s2, s24
	v_cmp_gt_i32_e32 vcc, s4, v0
	s_and_saveexec_b64 s[2:3], vcc
	s_cbranch_execz .LBB16_82
; %bb.80:
	v_lshlrev_b32_e32 v1, 1, v0
	v_mov_b32_e32 v2, 0
	s_lshl_b32 s5, s47, 1
	s_mov_b64 s[6:7], 0
	v_mov_b32_e32 v3, s53
	v_mov_b32_e32 v4, s51
	;; [unrolled: 1-line block ×3, first 2 shown]
.LBB16_81:                              ; =>This Inner Loop Header: Depth=1
	v_add_co_u32_e32 v6, vcc, s50, v1
	v_addc_co_u32_e32 v7, vcc, v4, v2, vcc
	global_load_ushort v8, v[6:7], off
	v_add_co_u32_e32 v6, vcc, s52, v1
	v_addc_co_u32_e32 v7, vcc, v3, v2, vcc
	v_add_co_u32_e32 v1, vcc, s5, v1
	v_add_u32_e32 v5, s47, v5
	v_addc_co_u32_e32 v2, vcc, 0, v2, vcc
	v_cmp_le_i32_e32 vcc, s4, v5
	s_or_b64 s[6:7], vcc, s[6:7]
	s_waitcnt vmcnt(0)
	global_store_short v[6:7], v8, off
	s_andn2_b64 exec, exec, s[6:7]
	s_cbranch_execnz .LBB16_81
.LBB16_82:
	s_or_b64 exec, exec, s[2:3]
	s_ashr_i32 s5, s4, 31
	s_lshl_b64 s[2:3], s[4:5], 1
	s_add_u32 s28, s50, s2
	s_addc_u32 s30, s51, s3
	s_add_u32 s29, s52, s2
	s_addc_u32 s31, s53, s3
	s_sub_i32 s25, s24, s4
	s_ashr_i32 s4, s25, 31
	s_lshr_b32 s4, s4, 29
	s_add_i32 s4, s25, s4
	s_ashr_i32 s34, s4, 3
	v_cmp_gt_i32_e32 vcc, s34, v0
	s_and_saveexec_b64 s[4:5], vcc
	s_cbranch_execz .LBB16_90
; %bb.83:
	v_add_u32_e32 v1, 1, v0
	v_max_i32_e32 v2, s34, v1
	s_and_b32 s6, s47, 0xffff
	v_sub_u32_e32 v5, v2, v0
	s_cmp_eq_u32 s6, 1
	v_cmp_lt_u32_e32 vcc, 1, v5
	s_cselect_b64 s[6:7], -1, 0
	s_and_b64 s[36:37], vcc, s[6:7]
	s_mov_b64 s[20:21], -1
	v_mov_b32_e32 v2, v0
	s_and_saveexec_b64 s[6:7], s[36:37]
	s_cbranch_execz .LBB16_87
; %bb.84:
	v_and_b32_e32 v6, -2, v5
	v_mov_b32_e32 v4, v1
	s_mov_b64 s[20:21], 0
	v_mov_b32_e32 v2, 0
	v_mov_b32_e32 v7, s30
	v_mov_b32_e32 v8, s31
	v_mov_b32_e32 v9, v6
	v_mov_b32_e32 v3, v0
.LBB16_85:                              ; =>This Inner Loop Header: Depth=1
	v_mov_b32_e32 v1, v3
	v_lshlrev_b64 v[18:19], 4, v[1:2]
	v_mov_b32_e32 v1, v4
	v_lshlrev_b64 v[20:21], 4, v[1:2]
	v_add_co_u32_e32 v22, vcc, s28, v18
	v_addc_co_u32_e32 v23, vcc, v7, v19, vcc
	v_add_co_u32_e32 v24, vcc, s28, v20
	v_addc_co_u32_e32 v25, vcc, v7, v21, vcc
	global_load_dwordx4 v[10:13], v[22:23], off
	global_load_dwordx4 v[14:17], v[24:25], off
	v_add_u32_e32 v9, -2, v9
	v_cmp_eq_u32_e32 vcc, 0, v9
	s_or_b64 s[20:21], vcc, s[20:21]
	v_add_co_u32_e32 v18, vcc, s29, v18
	v_addc_co_u32_e32 v19, vcc, v8, v19, vcc
	v_add_u32_e32 v3, 2, v3
	v_add_u32_e32 v4, 2, v4
	v_add_co_u32_e32 v20, vcc, s29, v20
	v_addc_co_u32_e32 v21, vcc, v8, v21, vcc
	s_waitcnt vmcnt(1)
	global_store_dwordx4 v[18:19], v[10:13], off
	s_waitcnt vmcnt(1)
	global_store_dwordx4 v[20:21], v[14:17], off
	s_andn2_b64 exec, exec, s[20:21]
	s_cbranch_execnz .LBB16_85
; %bb.86:
	s_or_b64 exec, exec, s[20:21]
	v_cmp_ne_u32_e32 vcc, v5, v6
	v_add_u32_e32 v2, v0, v6
	s_orn2_b64 s[20:21], vcc, exec
.LBB16_87:
	s_or_b64 exec, exec, s[6:7]
	s_and_b64 exec, exec, s[20:21]
	s_cbranch_execz .LBB16_90
; %bb.88:
	s_add_u32 s6, s16, s18
	s_addc_u32 s7, s17, s19
	v_mov_b32_e32 v3, 0
	v_lshlrev_b64 v[4:5], 4, v[2:3]
	s_add_u32 s6, s12, s6
	s_addc_u32 s7, s13, s7
	s_lshl_b32 s12, s47, 4
	v_mov_b32_e32 v3, s7
	v_add_co_u32_e32 v1, vcc, s6, v4
	s_add_u32 s6, s8, s26
	v_addc_co_u32_e32 v3, vcc, v3, v5, vcc
	s_addc_u32 s7, s9, s27
	v_mov_b32_e32 v6, s7
	v_add_co_u32_e32 v4, vcc, s6, v4
	v_addc_co_u32_e32 v5, vcc, v6, v5, vcc
	s_mov_b64 s[6:7], 0
	v_mov_b32_e32 v6, s3
.LBB16_89:                              ; =>This Inner Loop Header: Depth=1
	v_add_co_u32_e32 v7, vcc, s2, v4
	v_addc_co_u32_e32 v8, vcc, v5, v6, vcc
	global_load_dwordx4 v[7:10], v[7:8], off
	v_add_co_u32_e32 v11, vcc, s2, v1
	v_addc_co_u32_e32 v12, vcc, v3, v6, vcc
	v_add_co_u32_e32 v1, vcc, s12, v1
	v_addc_co_u32_e32 v3, vcc, 0, v3, vcc
	v_add_co_u32_e32 v4, vcc, s12, v4
	v_add_u32_e32 v2, s47, v2
	v_addc_co_u32_e32 v5, vcc, 0, v5, vcc
	v_cmp_le_i32_e32 vcc, s34, v2
	s_or_b64 s[6:7], vcc, s[6:7]
	s_waitcnt vmcnt(0)
	global_store_dwordx4 v[11:12], v[7:10], off
	s_andn2_b64 exec, exec, s[6:7]
	s_cbranch_execnz .LBB16_89
.LBB16_90:
	s_or_b64 exec, exec, s[4:5]
	v_lshl_add_u32 v1, s34, 3, v0
	v_cmp_gt_i32_e32 vcc, s25, v1
	s_and_saveexec_b64 s[4:5], vcc
	s_cbranch_execz .LBB16_98
; %bb.91:
	v_add_u32_e32 v2, 1, v1
	v_max_i32_e32 v2, s25, v2
	s_and_b32 s6, s47, 0xffff
	v_sub_u32_e32 v4, v2, v1
	s_cmp_eq_u32 s6, 1
	v_cmp_lt_u32_e32 vcc, 3, v4
	s_cselect_b64 s[6:7], -1, 0
	s_and_b64 s[12:13], vcc, s[6:7]
	s_mov_b64 s[8:9], -1
	s_and_saveexec_b64 s[6:7], s[12:13]
	s_cbranch_execz .LBB16_95
; %bb.92:
	v_and_b32_e32 v5, -4, v4
	s_mov_b64 s[8:9], 0
	v_mov_b32_e32 v6, s31
	v_mov_b32_e32 v7, s30
	;; [unrolled: 1-line block ×4, first 2 shown]
.LBB16_93:                              ; =>This Inner Loop Header: Depth=1
	v_ashrrev_i32_e32 v3, 31, v2
	v_lshlrev_b64 v[9:10], 1, v[2:3]
	v_add_u32_e32 v8, -4, v8
	v_add_co_u32_e32 v11, vcc, s28, v9
	v_addc_co_u32_e32 v12, vcc, v7, v10, vcc
	global_load_dwordx2 v[11:12], v[11:12], off
	v_cmp_eq_u32_e32 vcc, 0, v8
	s_or_b64 s[8:9], vcc, s[8:9]
	v_add_co_u32_e32 v9, vcc, s29, v9
	v_addc_co_u32_e32 v10, vcc, v6, v10, vcc
	v_add_u32_e32 v2, 4, v2
	s_waitcnt vmcnt(0)
	global_store_dwordx2 v[9:10], v[11:12], off
	s_andn2_b64 exec, exec, s[8:9]
	s_cbranch_execnz .LBB16_93
; %bb.94:
	s_or_b64 exec, exec, s[8:9]
	v_cmp_ne_u32_e32 vcc, v4, v5
	v_add_u32_e32 v1, v1, v5
	s_orn2_b64 s[8:9], vcc, exec
.LBB16_95:
	s_or_b64 exec, exec, s[6:7]
	s_and_b64 exec, exec, s[8:9]
	s_cbranch_execz .LBB16_98
; %bb.96:
	v_ashrrev_i32_e32 v2, 31, v1
	v_lshlrev_b64 v[2:3], 1, v[1:2]
	v_mov_b32_e32 v4, s3
	v_add_co_u32_e32 v2, vcc, s2, v2
	v_addc_co_u32_e32 v3, vcc, v4, v3, vcc
	s_lshl_b32 s6, s47, 1
	s_mov_b64 s[2:3], 0
	v_mov_b32_e32 v4, s53
	v_mov_b32_e32 v5, s51
.LBB16_97:                              ; =>This Inner Loop Header: Depth=1
	v_add_co_u32_e32 v6, vcc, s50, v2
	v_addc_co_u32_e32 v7, vcc, v5, v3, vcc
	global_load_ushort v8, v[6:7], off
	v_add_co_u32_e32 v6, vcc, s52, v2
	v_addc_co_u32_e32 v7, vcc, v4, v3, vcc
	v_add_co_u32_e32 v2, vcc, s6, v2
	v_add_u32_e32 v1, s47, v1
	v_addc_co_u32_e32 v3, vcc, 0, v3, vcc
	v_cmp_le_i32_e32 vcc, s25, v1
	s_or_b64 s[2:3], vcc, s[2:3]
	s_waitcnt vmcnt(0)
	global_store_short v[6:7], v8, off
	s_andn2_b64 exec, exec, s[2:3]
	s_cbranch_execnz .LBB16_97
.LBB16_98:
	s_or_b64 exec, exec, s[4:5]
	s_mov_b64 s[2:3], 0
.LBB16_99:
	s_and_b64 vcc, exec, s[2:3]
	s_cbranch_vccz .LBB16_109
; %bb.100:
	s_ashr_i32 s8, s24, 3
	v_cmp_gt_i32_e32 vcc, s8, v0
	s_and_saveexec_b64 s[2:3], vcc
	s_cbranch_execz .LBB16_108
; %bb.101:
	v_add_u32_e32 v1, 1, v0
	v_max_i32_e32 v2, s8, v1
	s_and_b32 s4, s47, 0xffff
	v_sub_u32_e32 v5, v2, v0
	s_cmp_eq_u32 s4, 1
	v_cmp_lt_u32_e32 vcc, 1, v5
	s_cselect_b64 s[4:5], -1, 0
	s_and_b64 s[12:13], vcc, s[4:5]
	s_mov_b64 s[6:7], -1
	v_mov_b32_e32 v2, v0
	s_and_saveexec_b64 s[4:5], s[12:13]
	s_cbranch_execz .LBB16_105
; %bb.102:
	v_and_b32_e32 v6, -2, v5
	v_mov_b32_e32 v4, v1
	s_mov_b64 s[6:7], 0
	v_mov_b32_e32 v2, 0
	v_mov_b32_e32 v7, s51
	;; [unrolled: 1-line block ×5, first 2 shown]
.LBB16_103:                             ; =>This Inner Loop Header: Depth=1
	v_mov_b32_e32 v1, v3
	v_lshlrev_b64 v[18:19], 4, v[1:2]
	v_mov_b32_e32 v1, v4
	v_lshlrev_b64 v[20:21], 4, v[1:2]
	v_add_co_u32_e32 v22, vcc, s50, v18
	v_addc_co_u32_e32 v23, vcc, v7, v19, vcc
	v_add_co_u32_e32 v24, vcc, s50, v20
	v_addc_co_u32_e32 v25, vcc, v7, v21, vcc
	global_load_dwordx4 v[10:13], v[22:23], off
	global_load_dwordx4 v[14:17], v[24:25], off
	v_add_u32_e32 v9, -2, v9
	v_cmp_eq_u32_e32 vcc, 0, v9
	s_or_b64 s[6:7], vcc, s[6:7]
	v_add_co_u32_e32 v18, vcc, s52, v18
	v_addc_co_u32_e32 v19, vcc, v8, v19, vcc
	v_add_u32_e32 v3, 2, v3
	v_add_u32_e32 v4, 2, v4
	v_add_co_u32_e32 v20, vcc, s52, v20
	v_addc_co_u32_e32 v21, vcc, v8, v21, vcc
	s_waitcnt vmcnt(1)
	global_store_dwordx4 v[18:19], v[10:13], off
	s_waitcnt vmcnt(1)
	global_store_dwordx4 v[20:21], v[14:17], off
	s_andn2_b64 exec, exec, s[6:7]
	s_cbranch_execnz .LBB16_103
; %bb.104:
	s_or_b64 exec, exec, s[6:7]
	v_cmp_ne_u32_e32 vcc, v5, v6
	v_add_u32_e32 v2, v0, v6
	s_orn2_b64 s[6:7], vcc, exec
.LBB16_105:
	s_or_b64 exec, exec, s[4:5]
	s_and_b64 exec, exec, s[6:7]
	s_cbranch_execz .LBB16_108
; %bb.106:
	v_mov_b32_e32 v3, 0
	v_lshlrev_b64 v[3:4], 4, v[2:3]
	s_lshl_b32 s6, s47, 4
	s_mov_b64 s[4:5], 0
	v_mov_b32_e32 v1, s51
	v_mov_b32_e32 v5, s53
.LBB16_107:                             ; =>This Inner Loop Header: Depth=1
	v_add_co_u32_e32 v6, vcc, s50, v3
	v_addc_co_u32_e32 v7, vcc, v1, v4, vcc
	global_load_dwordx4 v[6:9], v[6:7], off
	v_add_co_u32_e32 v10, vcc, s52, v3
	v_addc_co_u32_e32 v11, vcc, v5, v4, vcc
	v_add_co_u32_e32 v3, vcc, s6, v3
	v_add_u32_e32 v2, s47, v2
	v_addc_co_u32_e32 v4, vcc, 0, v4, vcc
	v_cmp_le_i32_e32 vcc, s8, v2
	s_or_b64 s[4:5], vcc, s[4:5]
	s_waitcnt vmcnt(0)
	global_store_dwordx4 v[10:11], v[6:9], off
	s_andn2_b64 exec, exec, s[4:5]
	s_cbranch_execnz .LBB16_107
.LBB16_108:
	s_or_b64 exec, exec, s[2:3]
.LBB16_109:
	s_and_b32 s2, s33, 15
	s_mov_b32 s3, 0
	s_cmp_lg_u64 s[2:3], 0
	s_cselect_b64 s[4:5], -1, 0
	s_xor_b64 s[0:1], s[0:1], -1
	s_or_b64 s[0:1], s[0:1], s[4:5]
	s_mov_b64 s[2:3], -1
	s_and_b64 vcc, exec, s[0:1]
	s_cbranch_vccz .LBB16_130
; %bb.110:
	s_sub_i32 s0, 0, s33
	s_bfe_u32 s0, s0, 0x30001
	s_min_i32 s2, s0, s24
	v_cmp_gt_i32_e32 vcc, s2, v0
	s_and_saveexec_b64 s[0:1], vcc
	s_cbranch_execz .LBB16_113
; %bb.111:
	v_lshlrev_b32_e32 v1, 1, v0
	v_mov_b32_e32 v2, 0
	s_lshl_b32 s3, s47, 1
	s_mov_b64 s[4:5], 0
	v_mov_b32_e32 v3, s49
	v_mov_b32_e32 v4, s48
	;; [unrolled: 1-line block ×3, first 2 shown]
.LBB16_112:                             ; =>This Inner Loop Header: Depth=1
	v_add_co_u32_e32 v6, vcc, s33, v1
	v_addc_co_u32_e32 v7, vcc, v4, v2, vcc
	global_load_ushort v8, v[6:7], off
	v_add_co_u32_e32 v6, vcc, s46, v1
	v_addc_co_u32_e32 v7, vcc, v3, v2, vcc
	v_add_co_u32_e32 v1, vcc, s3, v1
	v_add_u32_e32 v5, s47, v5
	v_addc_co_u32_e32 v2, vcc, 0, v2, vcc
	v_cmp_le_i32_e32 vcc, s2, v5
	s_or_b64 s[4:5], vcc, s[4:5]
	s_waitcnt vmcnt(0)
	global_store_short v[6:7], v8, off
	s_andn2_b64 exec, exec, s[4:5]
	s_cbranch_execnz .LBB16_112
.LBB16_113:
	s_or_b64 exec, exec, s[0:1]
	s_ashr_i32 s3, s2, 31
	s_lshl_b64 s[0:1], s[2:3], 1
	s_add_u32 s9, s33, s0
	s_addc_u32 s13, s48, s1
	s_add_u32 s12, s46, s0
	s_addc_u32 s20, s49, s1
	s_sub_i32 s8, s24, s2
	s_ashr_i32 s2, s8, 31
	s_lshr_b32 s2, s2, 29
	s_add_i32 s2, s8, s2
	s_ashr_i32 s21, s2, 3
	v_cmp_gt_i32_e32 vcc, s21, v0
	s_and_saveexec_b64 s[2:3], vcc
	s_cbranch_execz .LBB16_121
; %bb.114:
	v_add_u32_e32 v1, 1, v0
	v_max_i32_e32 v2, s21, v1
	s_and_b32 s4, s47, 0xffff
	v_sub_u32_e32 v5, v2, v0
	s_cmp_eq_u32 s4, 1
	v_cmp_lt_u32_e32 vcc, 1, v5
	s_cselect_b64 s[4:5], -1, 0
	s_and_b64 s[26:27], vcc, s[4:5]
	s_mov_b64 s[6:7], -1
	v_mov_b32_e32 v2, v0
	s_and_saveexec_b64 s[4:5], s[26:27]
	s_cbranch_execz .LBB16_118
; %bb.115:
	v_and_b32_e32 v6, -2, v5
	v_mov_b32_e32 v4, v1
	s_mov_b64 s[6:7], 0
	v_mov_b32_e32 v2, 0
	v_mov_b32_e32 v7, s13
	;; [unrolled: 1-line block ×5, first 2 shown]
.LBB16_116:                             ; =>This Inner Loop Header: Depth=1
	v_mov_b32_e32 v1, v3
	v_lshlrev_b64 v[18:19], 4, v[1:2]
	v_mov_b32_e32 v1, v4
	v_lshlrev_b64 v[20:21], 4, v[1:2]
	v_add_co_u32_e32 v22, vcc, s9, v18
	v_addc_co_u32_e32 v23, vcc, v7, v19, vcc
	v_add_co_u32_e32 v24, vcc, s9, v20
	v_addc_co_u32_e32 v25, vcc, v7, v21, vcc
	global_load_dwordx4 v[10:13], v[22:23], off
	global_load_dwordx4 v[14:17], v[24:25], off
	v_add_u32_e32 v9, -2, v9
	v_cmp_eq_u32_e32 vcc, 0, v9
	s_or_b64 s[6:7], vcc, s[6:7]
	v_add_co_u32_e32 v18, vcc, s12, v18
	v_addc_co_u32_e32 v19, vcc, v8, v19, vcc
	v_add_u32_e32 v3, 2, v3
	v_add_u32_e32 v4, 2, v4
	v_add_co_u32_e32 v20, vcc, s12, v20
	v_addc_co_u32_e32 v21, vcc, v8, v21, vcc
	s_waitcnt vmcnt(1)
	global_store_dwordx4 v[18:19], v[10:13], off
	s_waitcnt vmcnt(1)
	global_store_dwordx4 v[20:21], v[14:17], off
	s_andn2_b64 exec, exec, s[6:7]
	s_cbranch_execnz .LBB16_116
; %bb.117:
	s_or_b64 exec, exec, s[6:7]
	v_cmp_ne_u32_e32 vcc, v5, v6
	v_add_u32_e32 v2, v0, v6
	s_orn2_b64 s[6:7], vcc, exec
.LBB16_118:
	s_or_b64 exec, exec, s[4:5]
	s_and_b64 exec, exec, s[6:7]
	s_cbranch_execz .LBB16_121
; %bb.119:
	s_add_u32 s4, s16, s18
	s_addc_u32 s5, s17, s19
	v_mov_b32_e32 v3, 0
	v_lshlrev_b64 v[4:5], 4, v[2:3]
	s_add_u32 s4, s14, s4
	s_addc_u32 s5, s15, s5
	s_lshl_b32 s6, s47, 4
	v_mov_b32_e32 v3, s5
	v_add_co_u32_e32 v1, vcc, s4, v4
	s_add_u32 s4, s10, s22
	v_addc_co_u32_e32 v3, vcc, v3, v5, vcc
	s_addc_u32 s5, s11, s23
	v_mov_b32_e32 v6, s5
	v_add_co_u32_e32 v4, vcc, s4, v4
	v_addc_co_u32_e32 v5, vcc, v6, v5, vcc
	s_mov_b64 s[4:5], 0
	v_mov_b32_e32 v6, s1
.LBB16_120:                             ; =>This Inner Loop Header: Depth=1
	v_add_co_u32_e32 v7, vcc, s0, v4
	v_addc_co_u32_e32 v8, vcc, v5, v6, vcc
	global_load_dwordx4 v[7:10], v[7:8], off
	v_add_co_u32_e32 v11, vcc, s0, v1
	v_addc_co_u32_e32 v12, vcc, v3, v6, vcc
	v_add_co_u32_e32 v1, vcc, s6, v1
	v_addc_co_u32_e32 v3, vcc, 0, v3, vcc
	v_add_co_u32_e32 v4, vcc, s6, v4
	v_add_u32_e32 v2, s47, v2
	v_addc_co_u32_e32 v5, vcc, 0, v5, vcc
	v_cmp_le_i32_e32 vcc, s21, v2
	s_or_b64 s[4:5], vcc, s[4:5]
	s_waitcnt vmcnt(0)
	global_store_dwordx4 v[11:12], v[7:10], off
	s_andn2_b64 exec, exec, s[4:5]
	s_cbranch_execnz .LBB16_120
.LBB16_121:
	s_or_b64 exec, exec, s[2:3]
	v_lshl_add_u32 v1, s21, 3, v0
	v_cmp_gt_i32_e32 vcc, s8, v1
	s_and_saveexec_b64 s[2:3], vcc
	s_cbranch_execz .LBB16_129
; %bb.122:
	v_add_u32_e32 v2, 1, v1
	v_max_i32_e32 v2, s8, v2
	s_and_b32 s4, s47, 0xffff
	v_sub_u32_e32 v4, v2, v1
	s_cmp_eq_u32 s4, 1
	v_cmp_lt_u32_e32 vcc, 3, v4
	s_cselect_b64 s[4:5], -1, 0
	s_and_b64 s[10:11], vcc, s[4:5]
	s_mov_b64 s[6:7], -1
	s_and_saveexec_b64 s[4:5], s[10:11]
	s_cbranch_execz .LBB16_126
; %bb.123:
	v_and_b32_e32 v5, -4, v4
	s_mov_b64 s[6:7], 0
	v_mov_b32_e32 v6, s20
	v_mov_b32_e32 v7, s13
	;; [unrolled: 1-line block ×4, first 2 shown]
.LBB16_124:                             ; =>This Inner Loop Header: Depth=1
	v_ashrrev_i32_e32 v3, 31, v2
	v_lshlrev_b64 v[9:10], 1, v[2:3]
	v_add_u32_e32 v8, -4, v8
	v_add_co_u32_e32 v11, vcc, s9, v9
	v_addc_co_u32_e32 v12, vcc, v7, v10, vcc
	global_load_dwordx2 v[11:12], v[11:12], off
	v_cmp_eq_u32_e32 vcc, 0, v8
	s_or_b64 s[6:7], vcc, s[6:7]
	v_add_co_u32_e32 v9, vcc, s12, v9
	v_addc_co_u32_e32 v10, vcc, v6, v10, vcc
	v_add_u32_e32 v2, 4, v2
	s_waitcnt vmcnt(0)
	global_store_dwordx2 v[9:10], v[11:12], off
	s_andn2_b64 exec, exec, s[6:7]
	s_cbranch_execnz .LBB16_124
; %bb.125:
	s_or_b64 exec, exec, s[6:7]
	v_cmp_ne_u32_e32 vcc, v4, v5
	v_add_u32_e32 v1, v1, v5
	s_orn2_b64 s[6:7], vcc, exec
.LBB16_126:
	s_or_b64 exec, exec, s[4:5]
	s_and_b64 exec, exec, s[6:7]
	s_cbranch_execz .LBB16_129
; %bb.127:
	v_ashrrev_i32_e32 v2, 31, v1
	v_lshlrev_b64 v[2:3], 1, v[1:2]
	v_mov_b32_e32 v4, s1
	v_add_co_u32_e32 v2, vcc, s0, v2
	v_addc_co_u32_e32 v3, vcc, v4, v3, vcc
	s_lshl_b32 s4, s47, 1
	s_mov_b64 s[0:1], 0
	v_mov_b32_e32 v4, s49
	v_mov_b32_e32 v5, s48
.LBB16_128:                             ; =>This Inner Loop Header: Depth=1
	v_add_co_u32_e32 v6, vcc, s33, v2
	v_addc_co_u32_e32 v7, vcc, v5, v3, vcc
	global_load_ushort v8, v[6:7], off
	v_add_co_u32_e32 v6, vcc, s46, v2
	v_addc_co_u32_e32 v7, vcc, v4, v3, vcc
	v_add_co_u32_e32 v2, vcc, s4, v2
	v_add_u32_e32 v1, s47, v1
	v_addc_co_u32_e32 v3, vcc, 0, v3, vcc
	v_cmp_le_i32_e32 vcc, s8, v1
	s_or_b64 s[0:1], vcc, s[0:1]
	s_waitcnt vmcnt(0)
	global_store_short v[6:7], v8, off
	s_andn2_b64 exec, exec, s[0:1]
	s_cbranch_execnz .LBB16_128
.LBB16_129:
	s_or_b64 exec, exec, s[2:3]
	s_mov_b64 s[2:3], 0
.LBB16_130:
	s_and_b64 vcc, exec, s[2:3]
	s_cbranch_vccz .LBB16_139
; %bb.131:
	s_ashr_i32 s4, s24, 3
	v_cmp_gt_i32_e32 vcc, s4, v0
	s_and_saveexec_b64 s[0:1], vcc
	s_cbranch_execz .LBB16_139
; %bb.132:
	v_add_u32_e32 v1, 1, v0
	v_max_i32_e32 v2, s4, v1
	s_and_b32 s0, s47, 0xffff
	v_sub_u32_e32 v5, v2, v0
	s_cmp_eq_u32 s0, 1
	v_cmp_lt_u32_e32 vcc, 1, v5
	s_cselect_b64 s[0:1], -1, 0
	s_and_b64 s[6:7], vcc, s[0:1]
	s_mov_b64 s[2:3], -1
	s_and_saveexec_b64 s[0:1], s[6:7]
	s_cbranch_execz .LBB16_136
; %bb.133:
	v_and_b32_e32 v6, -2, v5
	v_mov_b32_e32 v4, v1
	s_mov_b64 s[2:3], 0
	v_mov_b32_e32 v2, 0
	v_mov_b32_e32 v7, s48
	;; [unrolled: 1-line block ×5, first 2 shown]
.LBB16_134:                             ; =>This Inner Loop Header: Depth=1
	v_mov_b32_e32 v1, v3
	v_lshlrev_b64 v[18:19], 4, v[1:2]
	v_mov_b32_e32 v1, v4
	v_lshlrev_b64 v[20:21], 4, v[1:2]
	v_add_co_u32_e32 v22, vcc, s33, v18
	v_addc_co_u32_e32 v23, vcc, v7, v19, vcc
	v_add_co_u32_e32 v24, vcc, s33, v20
	v_addc_co_u32_e32 v25, vcc, v7, v21, vcc
	global_load_dwordx4 v[10:13], v[22:23], off
	global_load_dwordx4 v[14:17], v[24:25], off
	v_add_u32_e32 v9, -2, v9
	v_cmp_eq_u32_e32 vcc, 0, v9
	s_or_b64 s[2:3], vcc, s[2:3]
	v_add_co_u32_e32 v18, vcc, s46, v18
	v_addc_co_u32_e32 v19, vcc, v8, v19, vcc
	v_add_u32_e32 v3, 2, v3
	v_add_u32_e32 v4, 2, v4
	v_add_co_u32_e32 v20, vcc, s46, v20
	v_addc_co_u32_e32 v21, vcc, v8, v21, vcc
	s_waitcnt vmcnt(1)
	global_store_dwordx4 v[18:19], v[10:13], off
	s_waitcnt vmcnt(1)
	global_store_dwordx4 v[20:21], v[14:17], off
	s_andn2_b64 exec, exec, s[2:3]
	s_cbranch_execnz .LBB16_134
; %bb.135:
	s_or_b64 exec, exec, s[2:3]
	v_cmp_ne_u32_e32 vcc, v5, v6
	v_add_u32_e32 v0, v0, v6
	s_orn2_b64 s[2:3], vcc, exec
.LBB16_136:
	s_or_b64 exec, exec, s[0:1]
	s_and_b64 exec, exec, s[2:3]
	s_cbranch_execz .LBB16_139
; %bb.137:
	v_mov_b32_e32 v1, 0
	v_lshlrev_b64 v[1:2], 4, v[0:1]
	s_lshl_b32 s2, s47, 4
	s_mov_b64 s[0:1], 0
	v_mov_b32_e32 v3, s48
	v_mov_b32_e32 v4, s49
.LBB16_138:                             ; =>This Inner Loop Header: Depth=1
	v_add_co_u32_e32 v5, vcc, s33, v1
	v_addc_co_u32_e32 v6, vcc, v3, v2, vcc
	global_load_dwordx4 v[5:8], v[5:6], off
	v_add_co_u32_e32 v9, vcc, s46, v1
	v_addc_co_u32_e32 v10, vcc, v4, v2, vcc
	v_add_co_u32_e32 v1, vcc, s2, v1
	v_add_u32_e32 v0, s47, v0
	v_addc_co_u32_e32 v2, vcc, 0, v2, vcc
	v_cmp_le_i32_e32 vcc, s4, v0
	s_or_b64 s[0:1], vcc, s[0:1]
	s_waitcnt vmcnt(0)
	global_store_dwordx4 v[9:10], v[5:8], off
	s_andn2_b64 exec, exec, s[0:1]
	s_cbranch_execnz .LBB16_138
.LBB16_139:
	s_endpgm
.LBB16_140:
                                        ; implicit-def: $sgpr2_sgpr3
	s_branch .LBB16_3
	.section	.rodata,"a",@progbits
	.p2align	6, 0x0
	.amdhsa_kernel _ZN4vllm30reshape_and_cache_flash_kernelI14__hip_bfloat16S1_LNS_18Fp8KVCacheDataTypeE0EEEvPKT_S5_PT0_S7_PKlllllliiiPKfSB_
		.amdhsa_group_segment_fixed_size 0
		.amdhsa_private_segment_fixed_size 0
		.amdhsa_kernarg_size 368
		.amdhsa_user_sgpr_count 6
		.amdhsa_user_sgpr_private_segment_buffer 1
		.amdhsa_user_sgpr_dispatch_ptr 0
		.amdhsa_user_sgpr_queue_ptr 0
		.amdhsa_user_sgpr_kernarg_segment_ptr 1
		.amdhsa_user_sgpr_dispatch_id 0
		.amdhsa_user_sgpr_flat_scratch_init 0
		.amdhsa_user_sgpr_private_segment_size 0
		.amdhsa_uses_dynamic_stack 0
		.amdhsa_system_sgpr_private_segment_wavefront_offset 0
		.amdhsa_system_sgpr_workgroup_id_x 1
		.amdhsa_system_sgpr_workgroup_id_y 0
		.amdhsa_system_sgpr_workgroup_id_z 0
		.amdhsa_system_sgpr_workgroup_info 0
		.amdhsa_system_vgpr_workitem_id 0
		.amdhsa_next_free_vgpr 54
		.amdhsa_next_free_sgpr 62
		.amdhsa_reserve_vcc 1
		.amdhsa_reserve_flat_scratch 0
		.amdhsa_float_round_mode_32 0
		.amdhsa_float_round_mode_16_64 0
		.amdhsa_float_denorm_mode_32 3
		.amdhsa_float_denorm_mode_16_64 3
		.amdhsa_dx10_clamp 1
		.amdhsa_ieee_mode 1
		.amdhsa_fp16_overflow 0
		.amdhsa_exception_fp_ieee_invalid_op 0
		.amdhsa_exception_fp_denorm_src 0
		.amdhsa_exception_fp_ieee_div_zero 0
		.amdhsa_exception_fp_ieee_overflow 0
		.amdhsa_exception_fp_ieee_underflow 0
		.amdhsa_exception_fp_ieee_inexact 0
		.amdhsa_exception_int_div_zero 0
	.end_amdhsa_kernel
	.section	.text._ZN4vllm30reshape_and_cache_flash_kernelI14__hip_bfloat16S1_LNS_18Fp8KVCacheDataTypeE0EEEvPKT_S5_PT0_S7_PKlllllliiiPKfSB_,"axG",@progbits,_ZN4vllm30reshape_and_cache_flash_kernelI14__hip_bfloat16S1_LNS_18Fp8KVCacheDataTypeE0EEEvPKT_S5_PT0_S7_PKlllllliiiPKfSB_,comdat
.Lfunc_end16:
	.size	_ZN4vllm30reshape_and_cache_flash_kernelI14__hip_bfloat16S1_LNS_18Fp8KVCacheDataTypeE0EEEvPKT_S5_PT0_S7_PKlllllliiiPKfSB_, .Lfunc_end16-_ZN4vllm30reshape_and_cache_flash_kernelI14__hip_bfloat16S1_LNS_18Fp8KVCacheDataTypeE0EEEvPKT_S5_PT0_S7_PKlllllliiiPKfSB_
                                        ; -- End function
	.set _ZN4vllm30reshape_and_cache_flash_kernelI14__hip_bfloat16S1_LNS_18Fp8KVCacheDataTypeE0EEEvPKT_S5_PT0_S7_PKlllllliiiPKfSB_.num_vgpr, 54
	.set _ZN4vllm30reshape_and_cache_flash_kernelI14__hip_bfloat16S1_LNS_18Fp8KVCacheDataTypeE0EEEvPKT_S5_PT0_S7_PKlllllliiiPKfSB_.num_agpr, 0
	.set _ZN4vllm30reshape_and_cache_flash_kernelI14__hip_bfloat16S1_LNS_18Fp8KVCacheDataTypeE0EEEvPKT_S5_PT0_S7_PKlllllliiiPKfSB_.numbered_sgpr, 62
	.set _ZN4vllm30reshape_and_cache_flash_kernelI14__hip_bfloat16S1_LNS_18Fp8KVCacheDataTypeE0EEEvPKT_S5_PT0_S7_PKlllllliiiPKfSB_.num_named_barrier, 0
	.set _ZN4vllm30reshape_and_cache_flash_kernelI14__hip_bfloat16S1_LNS_18Fp8KVCacheDataTypeE0EEEvPKT_S5_PT0_S7_PKlllllliiiPKfSB_.private_seg_size, 0
	.set _ZN4vllm30reshape_and_cache_flash_kernelI14__hip_bfloat16S1_LNS_18Fp8KVCacheDataTypeE0EEEvPKT_S5_PT0_S7_PKlllllliiiPKfSB_.uses_vcc, 1
	.set _ZN4vllm30reshape_and_cache_flash_kernelI14__hip_bfloat16S1_LNS_18Fp8KVCacheDataTypeE0EEEvPKT_S5_PT0_S7_PKlllllliiiPKfSB_.uses_flat_scratch, 0
	.set _ZN4vllm30reshape_and_cache_flash_kernelI14__hip_bfloat16S1_LNS_18Fp8KVCacheDataTypeE0EEEvPKT_S5_PT0_S7_PKlllllliiiPKfSB_.has_dyn_sized_stack, 0
	.set _ZN4vllm30reshape_and_cache_flash_kernelI14__hip_bfloat16S1_LNS_18Fp8KVCacheDataTypeE0EEEvPKT_S5_PT0_S7_PKlllllliiiPKfSB_.has_recursion, 0
	.set _ZN4vllm30reshape_and_cache_flash_kernelI14__hip_bfloat16S1_LNS_18Fp8KVCacheDataTypeE0EEEvPKT_S5_PT0_S7_PKlllllliiiPKfSB_.has_indirect_call, 0
	.section	.AMDGPU.csdata,"",@progbits
; Kernel info:
; codeLenInByte = 6656
; TotalNumSgprs: 66
; NumVgprs: 54
; ScratchSize: 0
; MemoryBound: 0
; FloatMode: 240
; IeeeMode: 1
; LDSByteSize: 0 bytes/workgroup (compile time only)
; SGPRBlocks: 8
; VGPRBlocks: 13
; NumSGPRsForWavesPerEU: 66
; NumVGPRsForWavesPerEU: 54
; Occupancy: 4
; WaveLimiterHint : 1
; COMPUTE_PGM_RSRC2:SCRATCH_EN: 0
; COMPUTE_PGM_RSRC2:USER_SGPR: 6
; COMPUTE_PGM_RSRC2:TRAP_HANDLER: 0
; COMPUTE_PGM_RSRC2:TGID_X_EN: 1
; COMPUTE_PGM_RSRC2:TGID_Y_EN: 0
; COMPUTE_PGM_RSRC2:TGID_Z_EN: 0
; COMPUTE_PGM_RSRC2:TIDIG_COMP_CNT: 0
	.section	.text._ZN4vllm30reshape_and_cache_flash_kernelIfhLNS_18Fp8KVCacheDataTypeE1EEEvPKT_S4_PT0_S6_PKlllllliiiPKfSA_,"axG",@progbits,_ZN4vllm30reshape_and_cache_flash_kernelIfhLNS_18Fp8KVCacheDataTypeE1EEEvPKT_S4_PT0_S6_PKlllllliiiPKfSA_,comdat
	.protected	_ZN4vllm30reshape_and_cache_flash_kernelIfhLNS_18Fp8KVCacheDataTypeE1EEEvPKT_S4_PT0_S6_PKlllllliiiPKfSA_ ; -- Begin function _ZN4vllm30reshape_and_cache_flash_kernelIfhLNS_18Fp8KVCacheDataTypeE1EEEvPKT_S4_PT0_S6_PKlllllliiiPKfSA_
	.globl	_ZN4vllm30reshape_and_cache_flash_kernelIfhLNS_18Fp8KVCacheDataTypeE1EEEvPKT_S4_PT0_S6_PKlllllliiiPKfSA_
	.p2align	8
	.type	_ZN4vllm30reshape_and_cache_flash_kernelIfhLNS_18Fp8KVCacheDataTypeE1EEEvPKT_S4_PT0_S6_PKlllllliiiPKfSA_,@function
_ZN4vllm30reshape_and_cache_flash_kernelIfhLNS_18Fp8KVCacheDataTypeE1EEEvPKT_S4_PT0_S6_PKlllllliiiPKfSA_: ; @_ZN4vllm30reshape_and_cache_flash_kernelIfhLNS_18Fp8KVCacheDataTypeE1EEEvPKT_S4_PT0_S6_PKlllllliiiPKfSA_
; %bb.0:
	s_load_dwordx2 s[0:1], s[4:5], 0x20
	s_mov_b32 s7, 0
	s_lshl_b64 s[2:3], s[6:7], 3
	s_waitcnt lgkmcnt(0)
	s_add_u32 s0, s0, s2
	s_addc_u32 s1, s1, s3
	s_load_dwordx2 s[28:29], s[0:1], 0x0
	s_waitcnt lgkmcnt(0)
	v_cmp_lt_i64_e64 s[0:1], s[28:29], 0
	s_and_b64 vcc, exec, s[0:1]
	s_cbranch_vccnz .LBB17_744
; %bb.1:
	s_load_dwordx4 s[24:27], s[4:5], 0x50
	s_load_dwordx8 s[8:15], s[4:5], 0x0
	s_waitcnt lgkmcnt(0)
	s_ashr_i32 s27, s26, 31
	s_or_b64 s[0:1], s[28:29], s[26:27]
	s_mov_b32 s0, s7
	s_cmp_lg_u64 s[0:1], 0
	s_cbranch_scc0 .LBB17_400
; %bb.2:
	s_ashr_i32 s0, s27, 31
	s_add_u32 s2, s26, s0
	s_mov_b32 s1, s0
	s_addc_u32 s3, s27, s0
	s_xor_b64 s[16:17], s[2:3], s[0:1]
	v_cvt_f32_u32_e32 v1, s16
	v_cvt_f32_u32_e32 v2, s17
	s_sub_u32 s7, 0, s16
	s_subb_u32 s20, 0, s17
	v_madmk_f32 v1, v2, 0x4f800000, v1
	v_rcp_f32_e32 v1, v1
	v_mul_f32_e32 v1, 0x5f7ffffc, v1
	v_mul_f32_e32 v2, 0x2f800000, v1
	v_trunc_f32_e32 v2, v2
	v_madmk_f32 v1, v2, 0xcf800000, v1
	v_cvt_u32_f32_e32 v2, v2
	v_cvt_u32_f32_e32 v1, v1
	v_readfirstlane_b32 s21, v2
	v_readfirstlane_b32 s18, v1
	s_mul_i32 s19, s7, s21
	s_mul_hi_u32 s23, s7, s18
	s_mul_i32 s22, s20, s18
	s_add_i32 s19, s23, s19
	s_add_i32 s19, s19, s22
	s_mul_i32 s30, s7, s18
	s_mul_i32 s23, s18, s19
	s_mul_hi_u32 s31, s18, s30
	s_mul_hi_u32 s22, s18, s19
	s_add_u32 s23, s31, s23
	s_addc_u32 s22, 0, s22
	s_mul_hi_u32 s33, s21, s30
	s_mul_i32 s30, s21, s30
	s_add_u32 s23, s23, s30
	s_mul_hi_u32 s31, s21, s19
	s_addc_u32 s22, s22, s33
	s_addc_u32 s23, s31, 0
	s_mul_i32 s19, s21, s19
	s_add_u32 s19, s22, s19
	s_addc_u32 s22, 0, s23
	s_add_u32 s23, s18, s19
	s_cselect_b64 s[18:19], -1, 0
	s_cmp_lg_u64 s[18:19], 0
	s_addc_u32 s21, s21, s22
	s_mul_i32 s18, s7, s21
	s_mul_hi_u32 s19, s7, s23
	s_add_i32 s18, s19, s18
	s_mul_i32 s20, s20, s23
	s_add_i32 s18, s18, s20
	s_mul_i32 s7, s7, s23
	s_mul_hi_u32 s20, s21, s7
	s_mul_i32 s22, s21, s7
	s_mul_i32 s31, s23, s18
	s_mul_hi_u32 s7, s23, s7
	s_mul_hi_u32 s30, s23, s18
	s_add_u32 s7, s7, s31
	s_addc_u32 s30, 0, s30
	s_add_u32 s7, s7, s22
	s_mul_hi_u32 s19, s21, s18
	s_addc_u32 s7, s30, s20
	s_addc_u32 s19, s19, 0
	s_mul_i32 s18, s21, s18
	s_add_u32 s7, s7, s18
	s_addc_u32 s20, 0, s19
	s_add_u32 s7, s23, s7
	s_cselect_b64 s[18:19], -1, 0
	s_cmp_lg_u64 s[18:19], 0
	s_addc_u32 s22, s21, s20
	s_ashr_i32 s18, s29, 31
	s_add_u32 s20, s28, s18
	s_mov_b32 s19, s18
	s_addc_u32 s21, s29, s18
	s_xor_b64 s[20:21], s[20:21], s[18:19]
	s_mul_i32 s30, s20, s22
	s_mul_hi_u32 s31, s20, s7
	s_mul_hi_u32 s23, s20, s22
	s_add_u32 s30, s31, s30
	s_addc_u32 s23, 0, s23
	s_mul_hi_u32 s33, s21, s7
	s_mul_i32 s7, s21, s7
	s_add_u32 s7, s30, s7
	s_mul_hi_u32 s31, s21, s22
	s_addc_u32 s7, s23, s33
	s_addc_u32 s23, s31, 0
	s_mul_i32 s22, s21, s22
	s_add_u32 s7, s7, s22
	s_addc_u32 s33, 0, s23
	s_mul_i32 s22, s16, s33
	s_mul_hi_u32 s23, s16, s7
	s_add_i32 s22, s23, s22
	s_mul_i32 s23, s17, s7
	s_add_i32 s34, s22, s23
	s_sub_i32 s30, s21, s34
	s_mul_i32 s22, s16, s7
	s_sub_u32 s20, s20, s22
	s_cselect_b64 s[22:23], -1, 0
	s_cmp_lg_u64 s[22:23], 0
	s_subb_u32 s35, s30, s17
	s_sub_u32 s36, s20, s16
	s_cselect_b64 s[30:31], -1, 0
	s_cmp_lg_u64 s[30:31], 0
	s_subb_u32 s30, s35, 0
	s_cmp_ge_u32 s30, s17
	s_cselect_b32 s31, -1, 0
	s_cmp_ge_u32 s36, s16
	s_cselect_b32 s35, -1, 0
	s_cmp_eq_u32 s30, s17
	s_cselect_b32 s30, s35, s31
	s_add_u32 s31, s7, 1
	s_addc_u32 s35, s33, 0
	s_add_u32 s36, s7, 2
	s_addc_u32 s37, s33, 0
	s_cmp_lg_u32 s30, 0
	s_cselect_b32 s30, s36, s31
	s_cselect_b32 s31, s37, s35
	s_cmp_lg_u64 s[22:23], 0
	s_subb_u32 s21, s21, s34
	s_cmp_ge_u32 s21, s17
	s_cselect_b32 s22, -1, 0
	s_cmp_ge_u32 s20, s16
	s_cselect_b32 s16, -1, 0
	s_cmp_eq_u32 s21, s17
	s_cselect_b32 s16, s16, s22
	s_cmp_lg_u32 s16, 0
	s_cselect_b32 s17, s31, s33
	s_cselect_b32 s16, s30, s7
	s_xor_b64 s[0:1], s[18:19], s[0:1]
	s_xor_b64 s[16:17], s[16:17], s[0:1]
	s_sub_u32 s30, s16, s0
	s_subb_u32 s31, s17, s1
	s_cbranch_execnz .LBB17_4
.LBB17_3:
	v_cvt_f32_u32_e32 v1, s26
	s_sub_i32 s0, 0, s26
	s_mov_b32 s31, 0
	v_rcp_iflag_f32_e32 v1, v1
	v_mul_f32_e32 v1, 0x4f7ffffe, v1
	v_cvt_u32_f32_e32 v1, v1
	v_readfirstlane_b32 s1, v1
	s_mul_i32 s0, s0, s1
	s_mul_hi_u32 s0, s1, s0
	s_add_i32 s1, s1, s0
	s_mul_hi_u32 s0, s28, s1
	s_mul_i32 s2, s0, s26
	s_sub_i32 s2, s28, s2
	s_add_i32 s1, s0, 1
	s_sub_i32 s3, s2, s26
	s_cmp_ge_u32 s2, s26
	s_cselect_b32 s0, s1, s0
	s_cselect_b32 s2, s3, s2
	s_add_i32 s1, s0, 1
	s_cmp_ge_u32 s2, s26
	s_cselect_b32 s30, s1, s0
.LBB17_4:
	s_mul_i32 s7, s30, s27
	s_mul_hi_u32 s27, s30, s26
	s_load_dwordx8 s[16:23], s[4:5], 0x28
	s_load_dwordx2 s[34:35], s[4:5], 0x48
	s_load_dwordx4 s[0:3], s[4:5], 0x60
	s_add_i32 s7, s27, s7
	s_mul_i32 s27, s31, s26
	s_add_i32 s7, s7, s27
	s_mul_i32 s26, s30, s26
	s_sub_u32 s26, s28, s26
	s_subb_u32 s27, s29, s7
	s_waitcnt lgkmcnt(0)
	s_mul_i32 s7, s23, s6
	s_mul_hi_u32 s23, s22, s6
	s_add_i32 s23, s23, s7
	s_mul_i32 s22, s22, s6
	s_lshl_b64 s[22:23], s[22:23], 2
	s_add_u32 s59, s8, s22
	s_mul_i32 s7, s35, s6
	s_mul_hi_u32 s28, s34, s6
	s_addc_u32 s60, s9, s23
	s_add_i32 s7, s28, s7
	s_mul_i32 s6, s34, s6
	s_lshl_b64 s[6:7], s[6:7], 2
	s_add_u32 s55, s10, s6
	s_mul_i32 s17, s30, s17
	s_mul_hi_u32 s28, s30, s16
	s_addc_u32 s61, s11, s7
	s_add_i32 s17, s28, s17
	s_mul_i32 s28, s31, s16
	s_add_i32 s49, s17, s28
	s_mul_i32 s50, s30, s16
	s_add_u32 s16, s12, s50
	s_mul_i32 s19, s26, s19
	s_mul_hi_u32 s28, s26, s18
	s_addc_u32 s17, s13, s49
	s_add_i32 s19, s28, s19
	s_mul_i32 s27, s27, s18
	s_add_i32 s51, s19, s27
	s_mul_i32 s52, s26, s18
	s_add_u32 s57, s16, s52
	s_addc_u32 s58, s17, s51
	s_add_u32 s16, s14, s50
	s_addc_u32 s17, s15, s49
	s_add_u32 s53, s16, s52
	s_load_dword s16, s[4:5], 0x7c
	s_load_dword s56, s[0:1], 0x0
	;; [unrolled: 1-line block ×3, first 2 shown]
	s_addc_u32 s54, s17, s51
	s_ashr_i32 s5, s25, 31
	s_mov_b32 s4, s25
	s_waitcnt lgkmcnt(0)
	s_and_b32 s48, s16, 0xffff
	s_cmp_lg_u64 s[20:21], s[4:5]
	s_mov_b64 s[0:1], -1
	s_cbranch_scc0 .LBB17_375
; %bb.5:
	v_lshrrev_b32_e32 v30, 5, v0
	v_cmp_gt_i32_e32 vcc, s24, v30
	s_and_saveexec_b64 s[4:5], vcc
	s_cbranch_execz .LBB17_374
; %bb.6:
	s_lshr_b32 s62, s48, 5
	s_and_b32 s0, s25, 3
	s_cmp_eq_u32 s0, 0
	s_cselect_b64 s[2:3], -1, 0
	s_ashr_i32 s63, s25, 2
	s_add_u32 s0, s52, s50
	s_addc_u32 s1, s51, s49
	v_mov_b32_e32 v2, s1
	v_mov_b32_e32 v1, s0
	v_mad_u64_u32 v[1:2], s[0:1], s20, v30, v[1:2]
	v_and_b32_e32 v31, 31, v0
	v_mov_b32_e32 v6, s13
	v_mad_u64_u32 v[2:3], s[16:17], s21, v30, v[2:3]
	v_lshlrev_b32_e32 v3, 2, v31
	v_add_co_u32_e32 v3, vcc, v1, v3
	s_mul_i32 s16, s21, s62
	s_mul_hi_u32 s17, s20, s62
	v_addc_co_u32_e32 v4, vcc, 0, v2, vcc
	s_add_i32 s64, s17, s16
	v_add_co_u32_e32 v5, vcc, s12, v3
	s_add_u32 s66, s8, s22
	v_addc_co_u32_e32 v6, vcc, v6, v4, vcc
	v_lshlrev_b32_e32 v9, 4, v31
	s_addc_u32 s67, s9, s23
	v_mov_b32_e32 v7, s67
	v_add_co_u32_e32 v32, vcc, s66, v9
	v_addc_co_u32_e32 v33, vcc, 0, v7, vcc
	v_mov_b32_e32 v7, s13
	v_add_co_u32_e32 v34, vcc, s12, v1
	v_addc_co_u32_e32 v35, vcc, v7, v2, vcc
	;; [unrolled: 3-line block ×3, first 2 shown]
	v_add_co_u32_e32 v36, vcc, 8, v32
	s_add_u32 s69, s10, s6
	v_addc_co_u32_e32 v37, vcc, 0, v33, vcc
	s_addc_u32 s70, s11, s7
	v_mov_b32_e32 v4, s70
	v_add_co_u32_e32 v38, vcc, s69, v9
	v_addc_co_u32_e32 v39, vcc, 0, v4, vcc
	v_mov_b32_e32 v3, s15
	v_add_co_u32_e32 v40, vcc, s14, v1
	v_mul_lo_u32 v9, s25, v30
	v_addc_co_u32_e32 v41, vcc, v3, v2, vcc
	v_add_co_u32_e32 v42, vcc, 8, v38
	v_cmp_gt_i32_e64 s[0:1], s63, v31
	s_mul_i32 s65, s20, s62
	s_mul_i32 s68, s25, s62
	v_addc_co_u32_e32 v43, vcc, 0, v39, vcc
	s_mov_b64 s[16:17], 0
	s_xor_b64 s[18:19], s[2:3], -1
	s_mov_b64 s[26:27], 0x7f800000
	s_movk_i32 s71, 0x80
	s_mov_b64 s[28:29], 0x43e00001
	s_movk_i32 s72, 0x7a
	s_mov_b64 s[30:31], 0xffffff
	s_movk_i32 s73, 0x7f
	v_mov_b32_e32 v44, 0x78
	v_mov_b32_e32 v45, 0xffffff82
	v_mov_b32_e32 v12, 0
	s_branch .LBB17_9
.LBB17_7:                               ;   in Loop: Header=BB17_9 Depth=1
	s_or_b64 exec, exec, s[36:37]
.LBB17_8:                               ;   in Loop: Header=BB17_9 Depth=1
	s_or_b64 exec, exec, s[34:35]
	v_mov_b32_e32 v1, s64
	v_add_co_u32_e32 v5, vcc, s65, v5
	v_addc_co_u32_e32 v6, vcc, v6, v1, vcc
	v_add_co_u32_e32 v34, vcc, s65, v34
	v_addc_co_u32_e32 v35, vcc, v35, v1, vcc
	v_add_co_u32_e32 v7, vcc, s65, v7
	v_add_u32_e32 v30, s62, v30
	v_addc_co_u32_e32 v8, vcc, v8, v1, vcc
	v_cmp_le_i32_e32 vcc, s24, v30
	s_or_b64 s[16:17], vcc, s[16:17]
	v_add_co_u32_e32 v40, vcc, s65, v40
	v_add_u32_e32 v9, s68, v9
	v_addc_co_u32_e32 v41, vcc, v41, v1, vcc
	s_andn2_b64 exec, exec, s[16:17]
	s_cbranch_execz .LBB17_374
.LBB17_9:                               ; =>This Loop Header: Depth=1
                                        ;     Child Loop BB17_35 Depth 2
                                        ;     Child Loop BB17_102 Depth 2
	;; [unrolled: 1-line block ×6, first 2 shown]
	v_mul_lo_u32 v1, v30, s25
	v_mad_u64_u32 v[15:16], s[2:3], s20, v30, 0
	v_mov_b32_e32 v3, s60
	v_ashrrev_i32_e32 v2, 31, v1
	v_lshlrev_b64 v[18:19], 2, v[1:2]
	v_ashrrev_i32_e32 v10, 31, v9
	v_add_co_u32_e32 v1, vcc, s59, v18
	v_addc_co_u32_e32 v2, vcc, v3, v19, vcc
	v_mov_b32_e32 v3, v16
	v_mad_u64_u32 v[16:17], s[2:3], s21, v30, v[3:4]
	v_and_b32_e32 v11, 15, v1
	v_cmp_ne_u64_e32 vcc, 0, v[11:12]
	v_lshlrev_b64 v[13:14], 2, v[9:10]
	s_or_b64 s[2:3], s[18:19], vcc
	s_and_saveexec_b64 s[34:35], s[2:3]
	s_xor_b64 s[34:35], exec, s[34:35]
	s_cbranch_execz .LBB17_123
; %bb.10:                               ;   in Loop: Header=BB17_9 Depth=1
	v_sub_u32_e32 v3, 0, v1
	v_bfe_u32 v3, v3, 2, 2
	v_min_i32_e32 v20, s25, v3
	v_cmp_lt_i32_e32 vcc, v31, v20
	s_and_saveexec_b64 s[36:37], vcc
	s_cbranch_execz .LBB17_32
; %bb.11:                               ;   in Loop: Header=BB17_9 Depth=1
	v_lshlrev_b32_e32 v3, 2, v31
	v_add_co_u32_e32 v1, vcc, v1, v3
	v_addc_co_u32_e32 v2, vcc, 0, v2, vcc
	global_load_dword v1, v[1:2], off
	s_waitcnt vmcnt(0)
	v_div_scale_f32 v2, s[2:3], s56, s56, v1
	v_div_scale_f32 v3, vcc, v1, s56, v1
	v_rcp_f32_e32 v4, v2
	v_fma_f32 v10, -v2, v4, 1.0
	v_fmac_f32_e32 v4, v10, v4
	v_mul_f32_e32 v10, v3, v4
	v_fma_f32 v11, -v2, v10, v3
	v_fmac_f32_e32 v10, v11, v4
	v_fma_f32 v2, -v2, v10, v3
	v_div_fmas_f32 v2, v2, v4, v10
	v_div_fixup_f32 v1, v2, s56, v1
	v_and_b32_e32 v11, 0x7f800000, v1
	v_cmp_ne_u64_e32 vcc, s[26:27], v[11:12]
                                        ; implicit-def: $vgpr2
	s_and_saveexec_b64 s[2:3], vcc
	s_xor_b64 s[38:39], exec, s[2:3]
	s_cbranch_execz .LBB17_29
; %bb.12:                               ;   in Loop: Header=BB17_9 Depth=1
	v_and_b32_e32 v11, 0x7fffffff, v1
	v_cmp_gt_u64_e32 vcc, s[28:29], v[11:12]
	v_and_b32_sdwa v4, v1, s71 dst_sel:DWORD dst_unused:UNUSED_PAD src0_sel:BYTE_3 src1_sel:DWORD
                                        ; implicit-def: $vgpr2
	s_and_saveexec_b64 s[2:3], vcc
	s_xor_b64 s[40:41], exec, s[2:3]
	s_cbranch_execz .LBB17_26
; %bb.13:                               ;   in Loop: Header=BB17_9 Depth=1
	v_cmp_ne_u32_e32 vcc, 0, v1
	v_mov_b32_e32 v2, 0
	s_and_saveexec_b64 s[42:43], vcc
	s_cbranch_execz .LBB17_25
; %bb.14:                               ;   in Loop: Header=BB17_9 Depth=1
	v_bfe_u32 v10, v1, 23, 8
	v_and_b32_e32 v3, 0x7fffff, v1
	v_sub_u32_e32 v1, 0x79, v10
	v_cmp_gt_u32_e32 vcc, s72, v10
	v_cndmask_b32_e32 v1, 0, v1, vcc
	v_cmp_eq_u32_e32 vcc, 0, v10
	v_cndmask_b32_e32 v17, v1, v44, vcc
	v_add_u32_e32 v1, 20, v17
	v_or_b32_e32 v11, 0x800000, v3
	v_lshlrev_b64 v[1:2], v1, -1
	v_cndmask_b32_e32 v11, v11, v3, vcc
	v_bfi_b32 v21, v1, 0, v11
	v_add_u32_e32 v1, 19, v17
	v_bfi_b32 v22, v2, 0, 0
	v_lshlrev_b64 v[23:24], v1, 1
	v_lshrrev_b64 v[1:2], v17, v[11:12]
	v_cmp_eq_u64_e64 s[2:3], v[21:22], v[23:24]
	v_mov_b32_e32 v3, v2
	v_mov_b32_e32 v2, v1
	s_and_saveexec_b64 s[44:45], s[2:3]
; %bb.15:                               ;   in Loop: Header=BB17_9 Depth=1
	v_bfe_u32 v2, v1, 20, 1
	v_add_co_u32_e64 v2, s[2:3], v1, v2
	v_add_co_u32_e64 v2, s[2:3], -1, v2
; %bb.16:                               ;   in Loop: Header=BB17_9 Depth=1
	s_or_b64 exec, exec, s[44:45]
	v_add_u32_e32 v3, 0xffffff81, v10
	v_cndmask_b32_e32 v3, v3, v45, vcc
	v_lshrrev_b32_e32 v10, 23, v1
	v_add3_u32 v17, v17, v3, v10
	v_add_u32_e32 v10, 6, v17
	v_and_b32_e32 v2, 0xfffff, v2
	v_add_u32_e32 v11, v2, v1
	v_cmp_ne_u32_e32 vcc, 0, v10
                                        ; implicit-def: $vgpr1_vgpr2
                                        ; implicit-def: $vgpr3
	s_and_saveexec_b64 s[2:3], vcc
	s_xor_b64 s[2:3], exec, s[2:3]
; %bb.17:                               ;   in Loop: Header=BB17_9 Depth=1
	v_cmp_lt_u64_e32 vcc, s[30:31], v[11:12]
	v_add_u32_e32 v1, 7, v17
	v_cndmask_b32_e32 v3, v10, v1, vcc
	v_cndmask_b32_e64 v1, 0, 1, vcc
	v_lshrrev_b64 v[1:2], v1, v[11:12]
; %bb.18:                               ;   in Loop: Header=BB17_9 Depth=1
	s_andn2_saveexec_b64 s[2:3], s[2:3]
; %bb.19:                               ;   in Loop: Header=BB17_9 Depth=1
	v_mov_b32_e32 v1, v11
	v_bfe_u32 v3, v11, 23, 1
	v_mov_b32_e32 v2, v12
; %bb.20:                               ;   in Loop: Header=BB17_9 Depth=1
	s_or_b64 exec, exec, s[2:3]
	v_lshrrev_b64 v[1:2], 20, v[1:2]
	v_cmp_gt_i32_e32 vcc, 16, v3
	v_cndmask_b32_e32 v2, 0, v2, vcc
	v_cndmask_b32_e32 v1, 7, v1, vcc
	v_cmp_ne_u64_e32 vcc, 0, v[1:2]
	v_cmp_ne_u32_e64 s[2:3], 0, v3
	s_or_b64 s[2:3], s[2:3], vcc
                                        ; implicit-def: $vgpr2
	s_and_saveexec_b64 s[44:45], s[2:3]
	s_xor_b64 s[2:3], exec, s[44:45]
; %bb.21:                               ;   in Loop: Header=BB17_9 Depth=1
	v_min_i32_e32 v2, 15, v3
	v_lshl_or_b32 v2, v2, 3, v4
	v_and_or_b32 v2, v1, 7, v2
                                        ; implicit-def: $vgpr4
; %bb.22:                               ;   in Loop: Header=BB17_9 Depth=1
	s_andn2_saveexec_b64 s[2:3], s[2:3]
; %bb.23:                               ;   in Loop: Header=BB17_9 Depth=1
	v_mov_b32_e32 v2, v4
; %bb.24:                               ;   in Loop: Header=BB17_9 Depth=1
	s_or_b64 exec, exec, s[2:3]
.LBB17_25:                              ;   in Loop: Header=BB17_9 Depth=1
	s_or_b64 exec, exec, s[42:43]
                                        ; implicit-def: $vgpr4
.LBB17_26:                              ;   in Loop: Header=BB17_9 Depth=1
	s_andn2_saveexec_b64 s[2:3], s[40:41]
; %bb.27:                               ;   in Loop: Header=BB17_9 Depth=1
	v_or_b32_e32 v2, 0x7e, v4
; %bb.28:                               ;   in Loop: Header=BB17_9 Depth=1
	s_or_b64 exec, exec, s[2:3]
                                        ; implicit-def: $vgpr1
.LBB17_29:                              ;   in Loop: Header=BB17_9 Depth=1
	s_andn2_saveexec_b64 s[2:3], s[38:39]
; %bb.30:                               ;   in Loop: Header=BB17_9 Depth=1
	v_or_b32_sdwa v2, v1, s73 dst_sel:DWORD dst_unused:UNUSED_PAD src0_sel:BYTE_3 src1_sel:DWORD
; %bb.31:                               ;   in Loop: Header=BB17_9 Depth=1
	s_or_b64 exec, exec, s[2:3]
	v_mov_b32_e32 v1, s58
	v_add_co_u32_e32 v3, vcc, s57, v15
	v_addc_co_u32_e32 v1, vcc, v1, v16, vcc
	v_add_co_u32_e32 v3, vcc, v3, v31
	v_addc_co_u32_e32 v4, vcc, 0, v1, vcc
	global_store_byte v[3:4], v2, off
.LBB17_32:                              ;   in Loop: Header=BB17_9 Depth=1
	s_or_b64 exec, exec, s[36:37]
	v_sub_u32_e32 v17, s25, v20
	v_ashrrev_i32_e32 v1, 31, v17
	v_lshrrev_b32_e32 v1, 30, v1
	v_ashrrev_i32_e32 v21, 31, v20
	v_add_u32_e32 v1, v17, v1
	v_ashrrev_i32_e32 v46, 2, v1
	v_lshlrev_b64 v[22:23], 2, v[20:21]
	v_cmp_lt_i32_e32 vcc, v31, v46
	s_and_saveexec_b64 s[36:37], vcc
	s_cbranch_execz .LBB17_99
; %bb.33:                               ;   in Loop: Header=BB17_9 Depth=1
	v_add_co_u32_e32 v24, vcc, v5, v20
	v_addc_co_u32_e32 v25, vcc, v6, v21, vcc
	v_add_co_u32_e32 v1, vcc, v22, v13
	v_addc_co_u32_e32 v2, vcc, v23, v14, vcc
	v_add_co_u32_e32 v26, vcc, v32, v1
	v_addc_co_u32_e32 v27, vcc, v33, v2, vcc
	s_mov_b64 s[38:39], 0
	v_mov_b32_e32 v47, v31
	s_branch .LBB17_35
.LBB17_34:                              ;   in Loop: Header=BB17_35 Depth=2
	s_or_b64 exec, exec, s[2:3]
	v_lshlrev_b32_e32 v1, 24, v1
	v_lshlrev_b32_e32 v2, 16, v29
	v_lshl_or_b32 v3, v10, 8, v28
	v_or3_b32 v1, v3, v2, v1
	global_store_dword v[24:25], v1, off
	v_add_co_u32_e32 v24, vcc, 0x80, v24
	v_add_u32_e32 v47, 32, v47
	v_addc_co_u32_e32 v25, vcc, 0, v25, vcc
	v_add_co_u32_e32 v26, vcc, 0x200, v26
	v_cmp_ge_i32_e64 s[2:3], v47, v46
	s_or_b64 s[38:39], s[2:3], s[38:39]
	v_addc_co_u32_e32 v27, vcc, 0, v27, vcc
	s_andn2_b64 exec, exec, s[38:39]
	s_cbranch_execz .LBB17_99
.LBB17_35:                              ;   Parent Loop BB17_9 Depth=1
                                        ; =>  This Inner Loop Header: Depth=2
	global_load_dwordx4 v[1:4], v[26:27], off
	s_waitcnt vmcnt(0)
	v_div_scale_f32 v10, s[2:3], s56, s56, v1
	v_div_scale_f32 v11, vcc, v1, s56, v1
	v_rcp_f32_e32 v28, v10
	v_fma_f32 v29, -v10, v28, 1.0
	v_fmac_f32_e32 v28, v29, v28
	v_mul_f32_e32 v29, v11, v28
	v_fma_f32 v48, -v10, v29, v11
	v_fmac_f32_e32 v29, v48, v28
	v_fma_f32 v10, -v10, v29, v11
	v_div_fmas_f32 v10, v10, v28, v29
                                        ; implicit-def: $vgpr28
	v_div_fixup_f32 v10, v10, s56, v1
	v_and_b32_e32 v11, 0x7f800000, v10
	v_cmp_ne_u64_e32 vcc, s[26:27], v[11:12]
	s_and_saveexec_b64 s[2:3], vcc
	s_xor_b64 s[40:41], exec, s[2:3]
	s_cbranch_execz .LBB17_49
; %bb.36:                               ;   in Loop: Header=BB17_35 Depth=2
	v_and_b32_e32 v11, 0x7fffffff, v10
	v_cmp_gt_u64_e32 vcc, s[28:29], v[11:12]
	v_and_b32_sdwa v1, v10, s71 dst_sel:DWORD dst_unused:UNUSED_PAD src0_sel:BYTE_3 src1_sel:DWORD
                                        ; implicit-def: $vgpr28
	s_and_saveexec_b64 s[2:3], vcc
	s_xor_b64 s[42:43], exec, s[2:3]
	s_cbranch_execz .LBB17_46
; %bb.37:                               ;   in Loop: Header=BB17_35 Depth=2
	v_mov_b32_e32 v28, 0
	v_cmp_ne_u32_e32 vcc, 0, v10
	s_and_saveexec_b64 s[44:45], vcc
	s_cbranch_execz .LBB17_45
; %bb.38:                               ;   in Loop: Header=BB17_35 Depth=2
	v_bfe_u32 v48, v10, 23, 8
	v_and_b32_e32 v11, 0x7fffff, v10
	v_sub_u32_e32 v10, 0x79, v48
	v_cmp_gt_u32_e32 vcc, s72, v48
	v_cndmask_b32_e32 v10, 0, v10, vcc
	v_cmp_eq_u32_e32 vcc, 0, v48
	v_cndmask_b32_e32 v49, v10, v44, vcc
	v_add_u32_e32 v10, 20, v49
	v_or_b32_e32 v50, 0x800000, v11
	v_lshlrev_b64 v[28:29], v10, -1
	v_cndmask_b32_e32 v11, v50, v11, vcc
	v_add_u32_e32 v10, 19, v49
	v_bfi_b32 v28, v28, 0, v11
	v_lshlrev_b64 v[50:51], v10, 1
	v_lshrrev_b64 v[10:11], v49, v[11:12]
	v_bfi_b32 v29, v29, 0, 0
	v_cmp_eq_u64_e64 s[2:3], v[28:29], v[50:51]
	v_mov_b32_e32 v29, v11
	v_mov_b32_e32 v28, v10
	s_and_saveexec_b64 s[46:47], s[2:3]
; %bb.39:                               ;   in Loop: Header=BB17_35 Depth=2
	v_bfe_u32 v11, v10, 20, 1
	v_add_co_u32_e64 v11, s[2:3], v10, v11
	v_add_co_u32_e64 v28, s[2:3], -1, v11
; %bb.40:                               ;   in Loop: Header=BB17_35 Depth=2
	s_or_b64 exec, exec, s[46:47]
	v_add_u32_e32 v11, 0xffffff81, v48
	v_cndmask_b32_e32 v11, v11, v45, vcc
	v_lshrrev_b32_e32 v29, 23, v10
	v_add3_u32 v49, v49, v11, v29
	v_add_u32_e32 v48, 6, v49
	v_and_b32_e32 v11, 0xfffff, v28
	v_add_u32_e32 v11, v11, v10
	v_cmp_ne_u32_e32 vcc, 0, v48
                                        ; implicit-def: $vgpr28_vgpr29
                                        ; implicit-def: $vgpr10
	s_and_saveexec_b64 s[2:3], vcc
	s_xor_b64 s[2:3], exec, s[2:3]
; %bb.41:                               ;   in Loop: Header=BB17_35 Depth=2
	v_cmp_lt_u64_e32 vcc, s[30:31], v[11:12]
	v_add_u32_e32 v10, 7, v49
	v_cndmask_b32_e64 v28, 0, 1, vcc
	v_cndmask_b32_e32 v10, v48, v10, vcc
	v_lshrrev_b64 v[28:29], v28, v[11:12]
; %bb.42:                               ;   in Loop: Header=BB17_35 Depth=2
	s_andn2_saveexec_b64 s[2:3], s[2:3]
; %bb.43:                               ;   in Loop: Header=BB17_35 Depth=2
	v_mov_b32_e32 v29, v12
	v_bfe_u32 v10, v11, 23, 1
	v_mov_b32_e32 v28, v11
; %bb.44:                               ;   in Loop: Header=BB17_35 Depth=2
	s_or_b64 exec, exec, s[2:3]
	v_lshrrev_b64 v[28:29], 20, v[28:29]
	v_cmp_gt_i32_e32 vcc, 16, v10
	v_cndmask_b32_e32 v29, 0, v29, vcc
	v_cndmask_b32_e32 v28, 7, v28, vcc
	v_cmp_eq_u32_e32 vcc, 0, v10
	v_min_i32_e32 v10, 15, v10
	v_cmp_eq_u64_e64 s[2:3], 0, v[28:29]
	v_lshlrev_b32_e32 v10, 3, v10
	v_and_b32_e32 v10, 0xf8, v10
	v_and_or_b32 v10, v28, 7, v10
	s_and_b64 s[2:3], vcc, s[2:3]
	v_cndmask_b32_e64 v10, v10, 0, s[2:3]
	v_or_b32_e32 v28, v10, v1
.LBB17_45:                              ;   in Loop: Header=BB17_35 Depth=2
	s_or_b64 exec, exec, s[44:45]
                                        ; implicit-def: $vgpr1
.LBB17_46:                              ;   in Loop: Header=BB17_35 Depth=2
	s_andn2_saveexec_b64 s[2:3], s[42:43]
; %bb.47:                               ;   in Loop: Header=BB17_35 Depth=2
	v_or_b32_e32 v28, 0x7e, v1
; %bb.48:                               ;   in Loop: Header=BB17_35 Depth=2
	s_or_b64 exec, exec, s[2:3]
                                        ; implicit-def: $vgpr10
.LBB17_49:                              ;   in Loop: Header=BB17_35 Depth=2
	s_andn2_saveexec_b64 s[2:3], s[40:41]
; %bb.50:                               ;   in Loop: Header=BB17_35 Depth=2
	v_or_b32_sdwa v28, v10, s73 dst_sel:DWORD dst_unused:UNUSED_PAD src0_sel:BYTE_3 src1_sel:DWORD
; %bb.51:                               ;   in Loop: Header=BB17_35 Depth=2
	s_or_b64 exec, exec, s[2:3]
	v_div_scale_f32 v1, s[2:3], s56, s56, v2
	v_div_scale_f32 v10, vcc, v2, s56, v2
	v_rcp_f32_e32 v11, v1
	v_fma_f32 v29, -v1, v11, 1.0
	v_fmac_f32_e32 v11, v29, v11
	v_mul_f32_e32 v29, v10, v11
	v_fma_f32 v48, -v1, v29, v10
	v_fmac_f32_e32 v29, v48, v11
	v_fma_f32 v1, -v1, v29, v10
	v_div_fmas_f32 v1, v1, v11, v29
                                        ; implicit-def: $vgpr10
	v_div_fixup_f32 v1, v1, s56, v2
	v_and_b32_e32 v11, 0x7f800000, v1
	v_cmp_ne_u64_e32 vcc, s[26:27], v[11:12]
	s_and_saveexec_b64 s[2:3], vcc
	s_xor_b64 s[40:41], exec, s[2:3]
	s_cbranch_execz .LBB17_65
; %bb.52:                               ;   in Loop: Header=BB17_35 Depth=2
	v_and_b32_e32 v11, 0x7fffffff, v1
	v_cmp_gt_u64_e32 vcc, s[28:29], v[11:12]
	v_and_b32_sdwa v29, v1, s71 dst_sel:DWORD dst_unused:UNUSED_PAD src0_sel:BYTE_3 src1_sel:DWORD
                                        ; implicit-def: $vgpr10
	s_and_saveexec_b64 s[2:3], vcc
	s_xor_b64 s[42:43], exec, s[2:3]
	s_cbranch_execz .LBB17_62
; %bb.53:                               ;   in Loop: Header=BB17_35 Depth=2
	v_mov_b32_e32 v10, 0
	v_cmp_ne_u32_e32 vcc, 0, v1
	s_and_saveexec_b64 s[44:45], vcc
	s_cbranch_execz .LBB17_61
; %bb.54:                               ;   in Loop: Header=BB17_35 Depth=2
	v_bfe_u32 v48, v1, 23, 8
	v_and_b32_e32 v10, 0x7fffff, v1
	v_sub_u32_e32 v1, 0x79, v48
	v_cmp_gt_u32_e32 vcc, s72, v48
	v_cndmask_b32_e32 v1, 0, v1, vcc
	v_cmp_eq_u32_e32 vcc, 0, v48
	v_cndmask_b32_e32 v49, v1, v44, vcc
	v_add_u32_e32 v1, 20, v49
	v_or_b32_e32 v11, 0x800000, v10
	v_lshlrev_b64 v[1:2], v1, -1
	v_cndmask_b32_e32 v11, v11, v10, vcc
	v_bfi_b32 v50, v1, 0, v11
	v_add_u32_e32 v1, 19, v49
	v_bfi_b32 v51, v2, 0, 0
	v_lshlrev_b64 v[52:53], v1, 1
	v_lshrrev_b64 v[1:2], v49, v[11:12]
	v_cmp_eq_u64_e64 s[2:3], v[50:51], v[52:53]
	v_mov_b32_e32 v11, v2
	v_mov_b32_e32 v10, v1
	s_and_saveexec_b64 s[46:47], s[2:3]
; %bb.55:                               ;   in Loop: Header=BB17_35 Depth=2
	v_bfe_u32 v2, v1, 20, 1
	v_add_co_u32_e64 v2, s[2:3], v1, v2
	v_add_co_u32_e64 v10, s[2:3], -1, v2
; %bb.56:                               ;   in Loop: Header=BB17_35 Depth=2
	s_or_b64 exec, exec, s[46:47]
	v_add_u32_e32 v2, 0xffffff81, v48
	v_cndmask_b32_e32 v2, v2, v45, vcc
	v_lshrrev_b32_e32 v11, 23, v1
	v_add3_u32 v49, v49, v2, v11
	v_add_u32_e32 v48, 6, v49
	v_and_b32_e32 v2, 0xfffff, v10
	v_add_u32_e32 v11, v2, v1
	v_cmp_ne_u32_e32 vcc, 0, v48
                                        ; implicit-def: $vgpr1_vgpr2
                                        ; implicit-def: $vgpr10
	s_and_saveexec_b64 s[2:3], vcc
	s_xor_b64 s[2:3], exec, s[2:3]
; %bb.57:                               ;   in Loop: Header=BB17_35 Depth=2
	v_cmp_lt_u64_e32 vcc, s[30:31], v[11:12]
	v_add_u32_e32 v1, 7, v49
	v_cndmask_b32_e32 v10, v48, v1, vcc
	v_cndmask_b32_e64 v1, 0, 1, vcc
	v_lshrrev_b64 v[1:2], v1, v[11:12]
; %bb.58:                               ;   in Loop: Header=BB17_35 Depth=2
	s_andn2_saveexec_b64 s[2:3], s[2:3]
; %bb.59:                               ;   in Loop: Header=BB17_35 Depth=2
	v_mov_b32_e32 v1, v11
	v_bfe_u32 v10, v11, 23, 1
	v_mov_b32_e32 v2, v12
; %bb.60:                               ;   in Loop: Header=BB17_35 Depth=2
	s_or_b64 exec, exec, s[2:3]
	v_lshrrev_b64 v[1:2], 20, v[1:2]
	v_cmp_gt_i32_e32 vcc, 16, v10
	v_cndmask_b32_e32 v2, 0, v2, vcc
	v_cndmask_b32_e32 v1, 7, v1, vcc
	v_cmp_eq_u64_e64 s[2:3], 0, v[1:2]
	v_min_i32_e32 v2, 15, v10
	v_lshlrev_b32_e32 v2, 3, v2
	v_cmp_eq_u32_e32 vcc, 0, v10
	v_and_b32_e32 v2, 0xf8, v2
	v_and_or_b32 v1, v1, 7, v2
	s_and_b64 s[2:3], vcc, s[2:3]
	v_cndmask_b32_e64 v1, v1, 0, s[2:3]
	v_or_b32_e32 v10, v1, v29
.LBB17_61:                              ;   in Loop: Header=BB17_35 Depth=2
	s_or_b64 exec, exec, s[44:45]
                                        ; implicit-def: $vgpr29
.LBB17_62:                              ;   in Loop: Header=BB17_35 Depth=2
	s_andn2_saveexec_b64 s[2:3], s[42:43]
; %bb.63:                               ;   in Loop: Header=BB17_35 Depth=2
	v_or_b32_e32 v10, 0x7e, v29
; %bb.64:                               ;   in Loop: Header=BB17_35 Depth=2
	s_or_b64 exec, exec, s[2:3]
                                        ; implicit-def: $vgpr1
.LBB17_65:                              ;   in Loop: Header=BB17_35 Depth=2
	s_andn2_saveexec_b64 s[2:3], s[40:41]
; %bb.66:                               ;   in Loop: Header=BB17_35 Depth=2
	v_or_b32_sdwa v10, v1, s73 dst_sel:DWORD dst_unused:UNUSED_PAD src0_sel:BYTE_3 src1_sel:DWORD
; %bb.67:                               ;   in Loop: Header=BB17_35 Depth=2
	s_or_b64 exec, exec, s[2:3]
	v_div_scale_f32 v1, s[2:3], s56, s56, v3
	v_div_scale_f32 v2, vcc, v3, s56, v3
	v_rcp_f32_e32 v11, v1
	v_fma_f32 v29, -v1, v11, 1.0
	v_fmac_f32_e32 v11, v29, v11
	v_mul_f32_e32 v29, v2, v11
	v_fma_f32 v48, -v1, v29, v2
	v_fmac_f32_e32 v29, v48, v11
	v_fma_f32 v1, -v1, v29, v2
	v_div_fmas_f32 v1, v1, v11, v29
                                        ; implicit-def: $vgpr29
	v_div_fixup_f32 v1, v1, s56, v3
	v_and_b32_e32 v11, 0x7f800000, v1
	v_cmp_ne_u64_e32 vcc, s[26:27], v[11:12]
	s_and_saveexec_b64 s[2:3], vcc
	s_xor_b64 s[40:41], exec, s[2:3]
	s_cbranch_execz .LBB17_81
; %bb.68:                               ;   in Loop: Header=BB17_35 Depth=2
	v_and_b32_e32 v11, 0x7fffffff, v1
	v_cmp_gt_u64_e32 vcc, s[28:29], v[11:12]
	v_and_b32_sdwa v48, v1, s71 dst_sel:DWORD dst_unused:UNUSED_PAD src0_sel:BYTE_3 src1_sel:DWORD
                                        ; implicit-def: $vgpr29
	s_and_saveexec_b64 s[2:3], vcc
	s_xor_b64 s[42:43], exec, s[2:3]
	s_cbranch_execz .LBB17_78
; %bb.69:                               ;   in Loop: Header=BB17_35 Depth=2
	v_mov_b32_e32 v29, 0
	v_cmp_ne_u32_e32 vcc, 0, v1
	s_and_saveexec_b64 s[44:45], vcc
	s_cbranch_execz .LBB17_77
; %bb.70:                               ;   in Loop: Header=BB17_35 Depth=2
	v_bfe_u32 v29, v1, 23, 8
	v_and_b32_e32 v3, 0x7fffff, v1
	v_sub_u32_e32 v1, 0x79, v29
	v_cmp_gt_u32_e32 vcc, s72, v29
	v_cndmask_b32_e32 v1, 0, v1, vcc
	v_cmp_eq_u32_e32 vcc, 0, v29
	v_cndmask_b32_e32 v49, v1, v44, vcc
	v_add_u32_e32 v1, 20, v49
	v_or_b32_e32 v11, 0x800000, v3
	v_lshlrev_b64 v[1:2], v1, -1
	v_cndmask_b32_e32 v11, v11, v3, vcc
	v_bfi_b32 v50, v1, 0, v11
	v_add_u32_e32 v1, 19, v49
	v_bfi_b32 v51, v2, 0, 0
	v_lshlrev_b64 v[52:53], v1, 1
	v_lshrrev_b64 v[1:2], v49, v[11:12]
	v_cmp_eq_u64_e64 s[2:3], v[50:51], v[52:53]
	v_mov_b32_e32 v3, v2
	v_mov_b32_e32 v2, v1
	s_and_saveexec_b64 s[46:47], s[2:3]
; %bb.71:                               ;   in Loop: Header=BB17_35 Depth=2
	v_bfe_u32 v2, v1, 20, 1
	v_add_co_u32_e64 v2, s[2:3], v1, v2
	v_add_co_u32_e64 v2, s[2:3], -1, v2
; %bb.72:                               ;   in Loop: Header=BB17_35 Depth=2
	s_or_b64 exec, exec, s[46:47]
	v_add_u32_e32 v3, 0xffffff81, v29
	v_cndmask_b32_e32 v3, v3, v45, vcc
	v_lshrrev_b32_e32 v11, 23, v1
	v_add3_u32 v49, v49, v3, v11
	v_add_u32_e32 v29, 6, v49
	v_and_b32_e32 v2, 0xfffff, v2
	v_add_u32_e32 v11, v2, v1
	v_cmp_ne_u32_e32 vcc, 0, v29
                                        ; implicit-def: $vgpr1_vgpr2
                                        ; implicit-def: $vgpr3
	s_and_saveexec_b64 s[2:3], vcc
	s_xor_b64 s[2:3], exec, s[2:3]
; %bb.73:                               ;   in Loop: Header=BB17_35 Depth=2
	v_cmp_lt_u64_e32 vcc, s[30:31], v[11:12]
	v_add_u32_e32 v1, 7, v49
	v_cndmask_b32_e32 v3, v29, v1, vcc
	v_cndmask_b32_e64 v1, 0, 1, vcc
	v_lshrrev_b64 v[1:2], v1, v[11:12]
; %bb.74:                               ;   in Loop: Header=BB17_35 Depth=2
	s_andn2_saveexec_b64 s[2:3], s[2:3]
; %bb.75:                               ;   in Loop: Header=BB17_35 Depth=2
	v_mov_b32_e32 v1, v11
	v_bfe_u32 v3, v11, 23, 1
	v_mov_b32_e32 v2, v12
; %bb.76:                               ;   in Loop: Header=BB17_35 Depth=2
	s_or_b64 exec, exec, s[2:3]
	v_lshrrev_b64 v[1:2], 20, v[1:2]
	v_cmp_gt_i32_e32 vcc, 16, v3
	v_cndmask_b32_e32 v2, 0, v2, vcc
	v_cndmask_b32_e32 v1, 7, v1, vcc
	v_cmp_eq_u64_e64 s[2:3], 0, v[1:2]
	v_min_i32_e32 v2, 15, v3
	v_lshlrev_b32_e32 v2, 3, v2
	v_cmp_eq_u32_e32 vcc, 0, v3
	v_and_b32_e32 v2, 0xf8, v2
	v_and_or_b32 v1, v1, 7, v2
	s_and_b64 s[2:3], vcc, s[2:3]
	v_cndmask_b32_e64 v1, v1, 0, s[2:3]
	v_or_b32_e32 v29, v1, v48
.LBB17_77:                              ;   in Loop: Header=BB17_35 Depth=2
	s_or_b64 exec, exec, s[44:45]
                                        ; implicit-def: $vgpr48
.LBB17_78:                              ;   in Loop: Header=BB17_35 Depth=2
	s_andn2_saveexec_b64 s[2:3], s[42:43]
; %bb.79:                               ;   in Loop: Header=BB17_35 Depth=2
	v_or_b32_e32 v29, 0x7e, v48
; %bb.80:                               ;   in Loop: Header=BB17_35 Depth=2
	s_or_b64 exec, exec, s[2:3]
                                        ; implicit-def: $vgpr1
.LBB17_81:                              ;   in Loop: Header=BB17_35 Depth=2
	s_andn2_saveexec_b64 s[2:3], s[40:41]
; %bb.82:                               ;   in Loop: Header=BB17_35 Depth=2
	v_or_b32_sdwa v29, v1, s73 dst_sel:DWORD dst_unused:UNUSED_PAD src0_sel:BYTE_3 src1_sel:DWORD
; %bb.83:                               ;   in Loop: Header=BB17_35 Depth=2
	s_or_b64 exec, exec, s[2:3]
	v_div_scale_f32 v1, s[2:3], s56, s56, v4
	v_div_scale_f32 v2, vcc, v4, s56, v4
	v_rcp_f32_e32 v3, v1
	v_fma_f32 v11, -v1, v3, 1.0
	v_fmac_f32_e32 v3, v11, v3
	v_mul_f32_e32 v11, v2, v3
	v_fma_f32 v48, -v1, v11, v2
	v_fmac_f32_e32 v11, v48, v3
	v_fma_f32 v1, -v1, v11, v2
	v_div_fmas_f32 v1, v1, v3, v11
	v_div_fixup_f32 v2, v1, s56, v4
	v_and_b32_e32 v11, 0x7f800000, v2
	v_cmp_ne_u64_e32 vcc, s[26:27], v[11:12]
                                        ; implicit-def: $vgpr1
	s_and_saveexec_b64 s[2:3], vcc
	s_xor_b64 s[40:41], exec, s[2:3]
	s_cbranch_execz .LBB17_97
; %bb.84:                               ;   in Loop: Header=BB17_35 Depth=2
	v_and_b32_e32 v11, 0x7fffffff, v2
	v_cmp_gt_u64_e32 vcc, s[28:29], v[11:12]
	v_and_b32_sdwa v4, v2, s71 dst_sel:DWORD dst_unused:UNUSED_PAD src0_sel:BYTE_3 src1_sel:DWORD
                                        ; implicit-def: $vgpr1
	s_and_saveexec_b64 s[2:3], vcc
	s_xor_b64 s[42:43], exec, s[2:3]
	s_cbranch_execz .LBB17_94
; %bb.85:                               ;   in Loop: Header=BB17_35 Depth=2
	v_mov_b32_e32 v1, 0
	v_cmp_ne_u32_e32 vcc, 0, v2
	s_and_saveexec_b64 s[44:45], vcc
	s_cbranch_execz .LBB17_93
; %bb.86:                               ;   in Loop: Header=BB17_35 Depth=2
	v_bfe_u32 v48, v2, 23, 8
	v_sub_u32_e32 v1, 0x79, v48
	v_cmp_gt_u32_e32 vcc, s72, v48
	v_cndmask_b32_e32 v1, 0, v1, vcc
	v_cmp_eq_u32_e32 vcc, 0, v48
	v_cndmask_b32_e32 v49, v1, v44, vcc
	v_and_b32_e32 v3, 0x7fffff, v2
	v_add_u32_e32 v1, 20, v49
	v_or_b32_e32 v11, 0x800000, v3
	v_lshlrev_b64 v[1:2], v1, -1
	v_cndmask_b32_e32 v11, v11, v3, vcc
	v_bfi_b32 v50, v1, 0, v11
	v_add_u32_e32 v1, 19, v49
	v_bfi_b32 v51, v2, 0, 0
	v_lshlrev_b64 v[52:53], v1, 1
	v_lshrrev_b64 v[1:2], v49, v[11:12]
	v_cmp_eq_u64_e64 s[2:3], v[50:51], v[52:53]
	v_mov_b32_e32 v3, v2
	v_mov_b32_e32 v2, v1
	s_and_saveexec_b64 s[46:47], s[2:3]
; %bb.87:                               ;   in Loop: Header=BB17_35 Depth=2
	v_bfe_u32 v2, v1, 20, 1
	v_add_co_u32_e64 v2, s[2:3], v1, v2
	v_add_co_u32_e64 v2, s[2:3], -1, v2
; %bb.88:                               ;   in Loop: Header=BB17_35 Depth=2
	s_or_b64 exec, exec, s[46:47]
	v_add_u32_e32 v3, 0xffffff81, v48
	v_cndmask_b32_e32 v3, v3, v45, vcc
	v_lshrrev_b32_e32 v11, 23, v1
	v_add3_u32 v49, v49, v3, v11
	v_add_u32_e32 v48, 6, v49
	v_and_b32_e32 v2, 0xfffff, v2
	v_add_u32_e32 v11, v2, v1
	v_cmp_ne_u32_e32 vcc, 0, v48
                                        ; implicit-def: $vgpr1_vgpr2
                                        ; implicit-def: $vgpr3
	s_and_saveexec_b64 s[2:3], vcc
	s_xor_b64 s[2:3], exec, s[2:3]
; %bb.89:                               ;   in Loop: Header=BB17_35 Depth=2
	v_cmp_lt_u64_e32 vcc, s[30:31], v[11:12]
	v_add_u32_e32 v1, 7, v49
	v_cndmask_b32_e32 v3, v48, v1, vcc
	v_cndmask_b32_e64 v1, 0, 1, vcc
	v_lshrrev_b64 v[1:2], v1, v[11:12]
; %bb.90:                               ;   in Loop: Header=BB17_35 Depth=2
	s_andn2_saveexec_b64 s[2:3], s[2:3]
; %bb.91:                               ;   in Loop: Header=BB17_35 Depth=2
	v_mov_b32_e32 v1, v11
	v_bfe_u32 v3, v11, 23, 1
	v_mov_b32_e32 v2, v12
; %bb.92:                               ;   in Loop: Header=BB17_35 Depth=2
	s_or_b64 exec, exec, s[2:3]
	v_lshrrev_b64 v[1:2], 20, v[1:2]
	v_cmp_gt_i32_e32 vcc, 16, v3
	v_cndmask_b32_e32 v2, 0, v2, vcc
	v_cndmask_b32_e32 v1, 7, v1, vcc
	v_cmp_eq_u64_e64 s[2:3], 0, v[1:2]
	v_min_i32_e32 v2, 15, v3
	v_lshlrev_b32_e32 v2, 3, v2
	v_cmp_eq_u32_e32 vcc, 0, v3
	v_and_b32_e32 v2, 0xf8, v2
	v_and_or_b32 v1, v1, 7, v2
	s_and_b64 s[2:3], vcc, s[2:3]
	v_cndmask_b32_e64 v1, v1, 0, s[2:3]
	v_or_b32_e32 v1, v1, v4
.LBB17_93:                              ;   in Loop: Header=BB17_35 Depth=2
	s_or_b64 exec, exec, s[44:45]
                                        ; implicit-def: $vgpr4
.LBB17_94:                              ;   in Loop: Header=BB17_35 Depth=2
	s_andn2_saveexec_b64 s[2:3], s[42:43]
; %bb.95:                               ;   in Loop: Header=BB17_35 Depth=2
	v_or_b32_e32 v1, 0x7e, v4
; %bb.96:                               ;   in Loop: Header=BB17_35 Depth=2
	s_or_b64 exec, exec, s[2:3]
                                        ; implicit-def: $vgpr2
.LBB17_97:                              ;   in Loop: Header=BB17_35 Depth=2
	s_andn2_saveexec_b64 s[2:3], s[40:41]
	s_cbranch_execz .LBB17_34
; %bb.98:                               ;   in Loop: Header=BB17_35 Depth=2
	v_or_b32_sdwa v1, v2, s73 dst_sel:DWORD dst_unused:UNUSED_PAD src0_sel:BYTE_3 src1_sel:DWORD
	s_branch .LBB17_34
.LBB17_99:                              ;   in Loop: Header=BB17_9 Depth=1
	s_or_b64 exec, exec, s[36:37]
	v_lshl_add_u32 v1, v46, 2, v31
	v_cmp_lt_i32_e32 vcc, v1, v17
	s_and_saveexec_b64 s[36:37], vcc
	s_cbranch_execz .LBB17_122
; %bb.100:                              ;   in Loop: Header=BB17_9 Depth=1
	v_ashrrev_i32_e32 v2, 31, v1
	v_add_co_u32_e32 v10, vcc, v22, v13
	v_lshlrev_b64 v[3:4], 2, v[1:2]
	v_addc_co_u32_e32 v11, vcc, v23, v14, vcc
	v_add_co_u32_e32 v3, vcc, v10, v3
	v_addc_co_u32_e32 v4, vcc, v11, v4, vcc
	v_mov_b32_e32 v10, s67
	v_add_co_u32_e32 v3, vcc, s66, v3
	v_addc_co_u32_e32 v4, vcc, v10, v4, vcc
	v_add_co_u32_e32 v10, vcc, v20, v1
	v_addc_co_u32_e32 v2, vcc, v21, v2, vcc
	;; [unrolled: 2-line block ×3, first 2 shown]
	s_mov_b64 s[38:39], 0
	s_branch .LBB17_102
.LBB17_101:                             ;   in Loop: Header=BB17_102 Depth=2
	s_or_b64 exec, exec, s[2:3]
	v_add_co_u32_e32 v3, vcc, 0x80, v3
	v_add_u32_e32 v1, 32, v1
	v_addc_co_u32_e32 v4, vcc, 0, v4, vcc
	v_cmp_ge_i32_e32 vcc, v1, v17
	global_store_byte v[20:21], v11, off
	s_or_b64 s[38:39], vcc, s[38:39]
	v_add_co_u32_e32 v20, vcc, 32, v20
	v_addc_co_u32_e32 v21, vcc, 0, v21, vcc
	s_andn2_b64 exec, exec, s[38:39]
	s_cbranch_execz .LBB17_122
.LBB17_102:                             ;   Parent Loop BB17_9 Depth=1
                                        ; =>  This Inner Loop Header: Depth=2
	global_load_dword v2, v[3:4], off
	s_waitcnt vmcnt(0)
	v_div_scale_f32 v10, s[2:3], s56, s56, v2
	v_div_scale_f32 v11, vcc, v2, s56, v2
	v_rcp_f32_e32 v22, v10
	v_fma_f32 v23, -v10, v22, 1.0
	v_fmac_f32_e32 v22, v23, v22
	v_mul_f32_e32 v23, v11, v22
	v_fma_f32 v24, -v10, v23, v11
	v_fmac_f32_e32 v23, v24, v22
	v_fma_f32 v10, -v10, v23, v11
	v_div_fmas_f32 v10, v10, v22, v23
	v_div_fixup_f32 v10, v10, s56, v2
	v_and_b32_e32 v11, 0x7f800000, v10
	v_cmp_ne_u64_e32 vcc, s[26:27], v[11:12]
                                        ; implicit-def: $vgpr11
	s_and_saveexec_b64 s[2:3], vcc
	s_xor_b64 s[40:41], exec, s[2:3]
	s_cbranch_execz .LBB17_120
; %bb.103:                              ;   in Loop: Header=BB17_102 Depth=2
	v_and_b32_e32 v11, 0x7fffffff, v10
	v_cmp_gt_u64_e32 vcc, s[28:29], v[11:12]
	v_and_b32_sdwa v2, v10, s71 dst_sel:DWORD dst_unused:UNUSED_PAD src0_sel:BYTE_3 src1_sel:DWORD
                                        ; implicit-def: $vgpr11
	s_and_saveexec_b64 s[2:3], vcc
	s_xor_b64 s[42:43], exec, s[2:3]
	s_cbranch_execz .LBB17_117
; %bb.104:                              ;   in Loop: Header=BB17_102 Depth=2
	v_cmp_ne_u32_e32 vcc, 0, v10
	v_mov_b32_e32 v11, 0
	s_and_saveexec_b64 s[44:45], vcc
	s_cbranch_execz .LBB17_116
; %bb.105:                              ;   in Loop: Header=BB17_102 Depth=2
	v_bfe_u32 v24, v10, 23, 8
	v_and_b32_e32 v11, 0x7fffff, v10
	v_sub_u32_e32 v10, 0x79, v24
	v_cmp_gt_u32_e32 vcc, s72, v24
	v_cndmask_b32_e32 v10, 0, v10, vcc
	v_cmp_eq_u32_e32 vcc, 0, v24
	v_cndmask_b32_e32 v25, v10, v44, vcc
	v_add_u32_e32 v10, 20, v25
	v_or_b32_e32 v26, 0x800000, v11
	v_lshlrev_b64 v[22:23], v10, -1
	v_cndmask_b32_e32 v11, v26, v11, vcc
	v_add_u32_e32 v10, 19, v25
	v_bfi_b32 v22, v22, 0, v11
	v_lshlrev_b64 v[26:27], v10, 1
	v_lshrrev_b64 v[10:11], v25, v[11:12]
	v_bfi_b32 v23, v23, 0, 0
	v_cmp_eq_u64_e64 s[2:3], v[22:23], v[26:27]
	v_mov_b32_e32 v23, v11
	v_mov_b32_e32 v22, v10
	s_and_saveexec_b64 s[46:47], s[2:3]
; %bb.106:                              ;   in Loop: Header=BB17_102 Depth=2
	v_bfe_u32 v11, v10, 20, 1
	v_add_co_u32_e64 v11, s[2:3], v10, v11
	v_add_co_u32_e64 v22, s[2:3], -1, v11
; %bb.107:                              ;   in Loop: Header=BB17_102 Depth=2
	s_or_b64 exec, exec, s[46:47]
	v_add_u32_e32 v11, 0xffffff81, v24
	v_cndmask_b32_e32 v11, v11, v45, vcc
	v_lshrrev_b32_e32 v23, 23, v10
	v_add3_u32 v26, v25, v11, v23
	v_add_u32_e32 v25, 6, v26
	v_and_b32_e32 v11, 0xfffff, v22
	v_add_u32_e32 v11, v11, v10
	v_cmp_ne_u32_e32 vcc, 0, v25
                                        ; implicit-def: $vgpr22_vgpr23
                                        ; implicit-def: $vgpr24
	s_and_saveexec_b64 s[2:3], vcc
	s_xor_b64 s[2:3], exec, s[2:3]
; %bb.108:                              ;   in Loop: Header=BB17_102 Depth=2
	v_cmp_lt_u64_e32 vcc, s[30:31], v[11:12]
	v_add_u32_e32 v10, 7, v26
	v_cndmask_b32_e32 v24, v25, v10, vcc
	v_cndmask_b32_e64 v10, 0, 1, vcc
	v_lshrrev_b64 v[22:23], v10, v[11:12]
; %bb.109:                              ;   in Loop: Header=BB17_102 Depth=2
	s_andn2_saveexec_b64 s[2:3], s[2:3]
; %bb.110:                              ;   in Loop: Header=BB17_102 Depth=2
	v_mov_b32_e32 v23, v12
	v_bfe_u32 v24, v11, 23, 1
	v_mov_b32_e32 v22, v11
; %bb.111:                              ;   in Loop: Header=BB17_102 Depth=2
	s_or_b64 exec, exec, s[2:3]
	v_lshrrev_b64 v[10:11], 20, v[22:23]
	v_cmp_gt_i32_e32 vcc, 16, v24
	v_cndmask_b32_e32 v11, 0, v11, vcc
	v_cndmask_b32_e32 v10, 7, v10, vcc
	v_cmp_ne_u64_e32 vcc, 0, v[10:11]
	v_cmp_ne_u32_e64 s[2:3], 0, v24
	s_or_b64 s[2:3], s[2:3], vcc
                                        ; implicit-def: $vgpr11
	s_and_saveexec_b64 s[46:47], s[2:3]
	s_xor_b64 s[2:3], exec, s[46:47]
; %bb.112:                              ;   in Loop: Header=BB17_102 Depth=2
	v_min_i32_e32 v11, 15, v24
	v_lshl_or_b32 v2, v11, 3, v2
	v_and_or_b32 v11, v10, 7, v2
                                        ; implicit-def: $vgpr2
; %bb.113:                              ;   in Loop: Header=BB17_102 Depth=2
	s_andn2_saveexec_b64 s[2:3], s[2:3]
; %bb.114:                              ;   in Loop: Header=BB17_102 Depth=2
	v_mov_b32_e32 v11, v2
; %bb.115:                              ;   in Loop: Header=BB17_102 Depth=2
	s_or_b64 exec, exec, s[2:3]
.LBB17_116:                             ;   in Loop: Header=BB17_102 Depth=2
	s_or_b64 exec, exec, s[44:45]
                                        ; implicit-def: $vgpr2
.LBB17_117:                             ;   in Loop: Header=BB17_102 Depth=2
	s_andn2_saveexec_b64 s[2:3], s[42:43]
; %bb.118:                              ;   in Loop: Header=BB17_102 Depth=2
	v_or_b32_e32 v11, 0x7e, v2
; %bb.119:                              ;   in Loop: Header=BB17_102 Depth=2
	s_or_b64 exec, exec, s[2:3]
                                        ; implicit-def: $vgpr10
.LBB17_120:                             ;   in Loop: Header=BB17_102 Depth=2
	s_andn2_saveexec_b64 s[2:3], s[40:41]
	s_cbranch_execz .LBB17_101
; %bb.121:                              ;   in Loop: Header=BB17_102 Depth=2
	v_or_b32_sdwa v11, v10, s73 dst_sel:DWORD dst_unused:UNUSED_PAD src0_sel:BYTE_3 src1_sel:DWORD
	s_branch .LBB17_101
.LBB17_122:                             ;   in Loop: Header=BB17_9 Depth=1
	s_or_b64 exec, exec, s[36:37]
.LBB17_123:                             ;   in Loop: Header=BB17_9 Depth=1
	s_andn2_saveexec_b64 s[34:35], s[34:35]
	s_cbranch_execz .LBB17_192
; %bb.124:                              ;   in Loop: Header=BB17_9 Depth=1
	s_and_saveexec_b64 s[36:37], s[0:1]
	s_cbranch_execz .LBB17_191
; %bb.125:                              ;   in Loop: Header=BB17_9 Depth=1
	v_add_co_u32_e32 v20, vcc, v36, v13
	v_mov_b32_e32 v23, v6
	v_addc_co_u32_e32 v21, vcc, v37, v14, vcc
	s_mov_b64 s[38:39], 0
	v_mov_b32_e32 v22, v5
	v_mov_b32_e32 v17, v31
	s_branch .LBB17_127
.LBB17_126:                             ;   in Loop: Header=BB17_127 Depth=2
	s_or_b64 exec, exec, s[2:3]
	v_lshlrev_b32_e32 v1, 24, v1
	v_lshlrev_b32_e32 v2, 16, v25
	v_lshl_or_b32 v3, v10, 8, v24
	v_or3_b32 v1, v3, v2, v1
	global_store_dword v[22:23], v1, off
	v_add_co_u32_e32 v22, vcc, 0x80, v22
	v_add_u32_e32 v17, 32, v17
	v_addc_co_u32_e32 v23, vcc, 0, v23, vcc
	v_add_co_u32_e32 v20, vcc, 0x200, v20
	v_cmp_le_i32_e64 s[2:3], s63, v17
	s_or_b64 s[38:39], s[2:3], s[38:39]
	v_addc_co_u32_e32 v21, vcc, 0, v21, vcc
	s_andn2_b64 exec, exec, s[38:39]
	s_cbranch_execz .LBB17_191
.LBB17_127:                             ;   Parent Loop BB17_9 Depth=1
                                        ; =>  This Inner Loop Header: Depth=2
	global_load_dwordx4 v[1:4], v[20:21], off offset:-8
	s_waitcnt vmcnt(0)
	v_div_scale_f32 v10, s[2:3], s56, s56, v1
	v_div_scale_f32 v11, vcc, v1, s56, v1
	v_rcp_f32_e32 v24, v10
	v_fma_f32 v25, -v10, v24, 1.0
	v_fmac_f32_e32 v24, v25, v24
	v_mul_f32_e32 v25, v11, v24
	v_fma_f32 v26, -v10, v25, v11
	v_fmac_f32_e32 v25, v26, v24
	v_fma_f32 v10, -v10, v25, v11
	v_div_fmas_f32 v10, v10, v24, v25
                                        ; implicit-def: $vgpr24
	v_div_fixup_f32 v10, v10, s56, v1
	v_and_b32_e32 v11, 0x7f800000, v10
	v_cmp_ne_u64_e32 vcc, s[26:27], v[11:12]
	s_and_saveexec_b64 s[2:3], vcc
	s_xor_b64 s[40:41], exec, s[2:3]
	s_cbranch_execz .LBB17_141
; %bb.128:                              ;   in Loop: Header=BB17_127 Depth=2
	v_and_b32_e32 v11, 0x7fffffff, v10
	v_cmp_gt_u64_e32 vcc, s[28:29], v[11:12]
	v_and_b32_sdwa v1, v10, s71 dst_sel:DWORD dst_unused:UNUSED_PAD src0_sel:BYTE_3 src1_sel:DWORD
                                        ; implicit-def: $vgpr24
	s_and_saveexec_b64 s[2:3], vcc
	s_xor_b64 s[42:43], exec, s[2:3]
	s_cbranch_execz .LBB17_138
; %bb.129:                              ;   in Loop: Header=BB17_127 Depth=2
	v_mov_b32_e32 v24, 0
	v_cmp_ne_u32_e32 vcc, 0, v10
	s_and_saveexec_b64 s[44:45], vcc
	s_cbranch_execz .LBB17_137
; %bb.130:                              ;   in Loop: Header=BB17_127 Depth=2
	v_bfe_u32 v26, v10, 23, 8
	v_and_b32_e32 v11, 0x7fffff, v10
	v_sub_u32_e32 v10, 0x79, v26
	v_cmp_gt_u32_e32 vcc, s72, v26
	v_cndmask_b32_e32 v10, 0, v10, vcc
	v_cmp_eq_u32_e32 vcc, 0, v26
	v_cndmask_b32_e32 v27, v10, v44, vcc
	v_add_u32_e32 v10, 20, v27
	v_or_b32_e32 v28, 0x800000, v11
	v_lshlrev_b64 v[24:25], v10, -1
	v_cndmask_b32_e32 v11, v28, v11, vcc
	v_add_u32_e32 v10, 19, v27
	v_bfi_b32 v24, v24, 0, v11
	v_lshlrev_b64 v[28:29], v10, 1
	v_lshrrev_b64 v[10:11], v27, v[11:12]
	v_bfi_b32 v25, v25, 0, 0
	v_cmp_eq_u64_e64 s[2:3], v[24:25], v[28:29]
	v_mov_b32_e32 v25, v11
	v_mov_b32_e32 v24, v10
	s_and_saveexec_b64 s[46:47], s[2:3]
; %bb.131:                              ;   in Loop: Header=BB17_127 Depth=2
	v_bfe_u32 v11, v10, 20, 1
	v_add_co_u32_e64 v11, s[2:3], v10, v11
	v_add_co_u32_e64 v24, s[2:3], -1, v11
; %bb.132:                              ;   in Loop: Header=BB17_127 Depth=2
	s_or_b64 exec, exec, s[46:47]
	v_add_u32_e32 v11, 0xffffff81, v26
	v_cndmask_b32_e32 v11, v11, v45, vcc
	v_lshrrev_b32_e32 v25, 23, v10
	v_add3_u32 v27, v27, v11, v25
	v_add_u32_e32 v26, 6, v27
	v_and_b32_e32 v11, 0xfffff, v24
	v_add_u32_e32 v11, v11, v10
	v_cmp_ne_u32_e32 vcc, 0, v26
                                        ; implicit-def: $vgpr24_vgpr25
                                        ; implicit-def: $vgpr10
	s_and_saveexec_b64 s[2:3], vcc
	s_xor_b64 s[2:3], exec, s[2:3]
; %bb.133:                              ;   in Loop: Header=BB17_127 Depth=2
	v_cmp_lt_u64_e32 vcc, s[30:31], v[11:12]
	v_add_u32_e32 v10, 7, v27
	v_cndmask_b32_e64 v24, 0, 1, vcc
	v_cndmask_b32_e32 v10, v26, v10, vcc
	v_lshrrev_b64 v[24:25], v24, v[11:12]
; %bb.134:                              ;   in Loop: Header=BB17_127 Depth=2
	s_andn2_saveexec_b64 s[2:3], s[2:3]
; %bb.135:                              ;   in Loop: Header=BB17_127 Depth=2
	v_mov_b32_e32 v25, v12
	v_bfe_u32 v10, v11, 23, 1
	v_mov_b32_e32 v24, v11
; %bb.136:                              ;   in Loop: Header=BB17_127 Depth=2
	s_or_b64 exec, exec, s[2:3]
	v_lshrrev_b64 v[24:25], 20, v[24:25]
	v_cmp_gt_i32_e32 vcc, 16, v10
	v_cndmask_b32_e32 v25, 0, v25, vcc
	v_cndmask_b32_e32 v24, 7, v24, vcc
	v_cmp_eq_u32_e32 vcc, 0, v10
	v_min_i32_e32 v10, 15, v10
	v_cmp_eq_u64_e64 s[2:3], 0, v[24:25]
	v_lshlrev_b32_e32 v10, 3, v10
	v_and_b32_e32 v10, 0xf8, v10
	v_and_or_b32 v10, v24, 7, v10
	s_and_b64 s[2:3], vcc, s[2:3]
	v_cndmask_b32_e64 v10, v10, 0, s[2:3]
	v_or_b32_e32 v24, v10, v1
.LBB17_137:                             ;   in Loop: Header=BB17_127 Depth=2
	s_or_b64 exec, exec, s[44:45]
                                        ; implicit-def: $vgpr1
.LBB17_138:                             ;   in Loop: Header=BB17_127 Depth=2
	s_andn2_saveexec_b64 s[2:3], s[42:43]
; %bb.139:                              ;   in Loop: Header=BB17_127 Depth=2
	v_or_b32_e32 v24, 0x7e, v1
; %bb.140:                              ;   in Loop: Header=BB17_127 Depth=2
	s_or_b64 exec, exec, s[2:3]
                                        ; implicit-def: $vgpr10
.LBB17_141:                             ;   in Loop: Header=BB17_127 Depth=2
	s_andn2_saveexec_b64 s[2:3], s[40:41]
; %bb.142:                              ;   in Loop: Header=BB17_127 Depth=2
	v_or_b32_sdwa v24, v10, s73 dst_sel:DWORD dst_unused:UNUSED_PAD src0_sel:BYTE_3 src1_sel:DWORD
; %bb.143:                              ;   in Loop: Header=BB17_127 Depth=2
	s_or_b64 exec, exec, s[2:3]
	v_div_scale_f32 v1, s[2:3], s56, s56, v2
	v_div_scale_f32 v10, vcc, v2, s56, v2
	v_rcp_f32_e32 v11, v1
	v_fma_f32 v25, -v1, v11, 1.0
	v_fmac_f32_e32 v11, v25, v11
	v_mul_f32_e32 v25, v10, v11
	v_fma_f32 v26, -v1, v25, v10
	v_fmac_f32_e32 v25, v26, v11
	v_fma_f32 v1, -v1, v25, v10
	v_div_fmas_f32 v1, v1, v11, v25
                                        ; implicit-def: $vgpr10
	v_div_fixup_f32 v1, v1, s56, v2
	v_and_b32_e32 v11, 0x7f800000, v1
	v_cmp_ne_u64_e32 vcc, s[26:27], v[11:12]
	s_and_saveexec_b64 s[2:3], vcc
	s_xor_b64 s[40:41], exec, s[2:3]
	s_cbranch_execz .LBB17_157
; %bb.144:                              ;   in Loop: Header=BB17_127 Depth=2
	v_and_b32_e32 v11, 0x7fffffff, v1
	v_cmp_gt_u64_e32 vcc, s[28:29], v[11:12]
	v_and_b32_sdwa v25, v1, s71 dst_sel:DWORD dst_unused:UNUSED_PAD src0_sel:BYTE_3 src1_sel:DWORD
                                        ; implicit-def: $vgpr10
	s_and_saveexec_b64 s[2:3], vcc
	s_xor_b64 s[42:43], exec, s[2:3]
	s_cbranch_execz .LBB17_154
; %bb.145:                              ;   in Loop: Header=BB17_127 Depth=2
	v_mov_b32_e32 v10, 0
	v_cmp_ne_u32_e32 vcc, 0, v1
	s_and_saveexec_b64 s[44:45], vcc
	s_cbranch_execz .LBB17_153
; %bb.146:                              ;   in Loop: Header=BB17_127 Depth=2
	v_bfe_u32 v26, v1, 23, 8
	v_and_b32_e32 v10, 0x7fffff, v1
	v_sub_u32_e32 v1, 0x79, v26
	v_cmp_gt_u32_e32 vcc, s72, v26
	v_cndmask_b32_e32 v1, 0, v1, vcc
	v_cmp_eq_u32_e32 vcc, 0, v26
	v_cndmask_b32_e32 v27, v1, v44, vcc
	v_add_u32_e32 v1, 20, v27
	v_or_b32_e32 v11, 0x800000, v10
	v_lshlrev_b64 v[1:2], v1, -1
	v_cndmask_b32_e32 v11, v11, v10, vcc
	v_bfi_b32 v28, v1, 0, v11
	v_add_u32_e32 v1, 19, v27
	v_bfi_b32 v29, v2, 0, 0
	v_lshlrev_b64 v[46:47], v1, 1
	v_lshrrev_b64 v[1:2], v27, v[11:12]
	v_cmp_eq_u64_e64 s[2:3], v[28:29], v[46:47]
	v_mov_b32_e32 v11, v2
	v_mov_b32_e32 v10, v1
	s_and_saveexec_b64 s[46:47], s[2:3]
; %bb.147:                              ;   in Loop: Header=BB17_127 Depth=2
	v_bfe_u32 v2, v1, 20, 1
	v_add_co_u32_e64 v2, s[2:3], v1, v2
	v_add_co_u32_e64 v10, s[2:3], -1, v2
; %bb.148:                              ;   in Loop: Header=BB17_127 Depth=2
	s_or_b64 exec, exec, s[46:47]
	v_add_u32_e32 v2, 0xffffff81, v26
	v_cndmask_b32_e32 v2, v2, v45, vcc
	v_lshrrev_b32_e32 v11, 23, v1
	v_add3_u32 v27, v27, v2, v11
	v_add_u32_e32 v26, 6, v27
	v_and_b32_e32 v2, 0xfffff, v10
	v_add_u32_e32 v11, v2, v1
	v_cmp_ne_u32_e32 vcc, 0, v26
                                        ; implicit-def: $vgpr1_vgpr2
                                        ; implicit-def: $vgpr10
	s_and_saveexec_b64 s[2:3], vcc
	s_xor_b64 s[2:3], exec, s[2:3]
; %bb.149:                              ;   in Loop: Header=BB17_127 Depth=2
	v_cmp_lt_u64_e32 vcc, s[30:31], v[11:12]
	v_add_u32_e32 v1, 7, v27
	v_cndmask_b32_e32 v10, v26, v1, vcc
	v_cndmask_b32_e64 v1, 0, 1, vcc
	v_lshrrev_b64 v[1:2], v1, v[11:12]
; %bb.150:                              ;   in Loop: Header=BB17_127 Depth=2
	s_andn2_saveexec_b64 s[2:3], s[2:3]
; %bb.151:                              ;   in Loop: Header=BB17_127 Depth=2
	v_mov_b32_e32 v1, v11
	v_bfe_u32 v10, v11, 23, 1
	v_mov_b32_e32 v2, v12
; %bb.152:                              ;   in Loop: Header=BB17_127 Depth=2
	s_or_b64 exec, exec, s[2:3]
	v_lshrrev_b64 v[1:2], 20, v[1:2]
	v_cmp_gt_i32_e32 vcc, 16, v10
	v_cndmask_b32_e32 v2, 0, v2, vcc
	v_cndmask_b32_e32 v1, 7, v1, vcc
	v_cmp_eq_u64_e64 s[2:3], 0, v[1:2]
	v_min_i32_e32 v2, 15, v10
	v_lshlrev_b32_e32 v2, 3, v2
	v_cmp_eq_u32_e32 vcc, 0, v10
	v_and_b32_e32 v2, 0xf8, v2
	v_and_or_b32 v1, v1, 7, v2
	s_and_b64 s[2:3], vcc, s[2:3]
	v_cndmask_b32_e64 v1, v1, 0, s[2:3]
	v_or_b32_e32 v10, v1, v25
.LBB17_153:                             ;   in Loop: Header=BB17_127 Depth=2
	s_or_b64 exec, exec, s[44:45]
                                        ; implicit-def: $vgpr25
.LBB17_154:                             ;   in Loop: Header=BB17_127 Depth=2
	s_andn2_saveexec_b64 s[2:3], s[42:43]
; %bb.155:                              ;   in Loop: Header=BB17_127 Depth=2
	v_or_b32_e32 v10, 0x7e, v25
; %bb.156:                              ;   in Loop: Header=BB17_127 Depth=2
	s_or_b64 exec, exec, s[2:3]
                                        ; implicit-def: $vgpr1
.LBB17_157:                             ;   in Loop: Header=BB17_127 Depth=2
	s_andn2_saveexec_b64 s[2:3], s[40:41]
; %bb.158:                              ;   in Loop: Header=BB17_127 Depth=2
	v_or_b32_sdwa v10, v1, s73 dst_sel:DWORD dst_unused:UNUSED_PAD src0_sel:BYTE_3 src1_sel:DWORD
; %bb.159:                              ;   in Loop: Header=BB17_127 Depth=2
	s_or_b64 exec, exec, s[2:3]
	v_div_scale_f32 v1, s[2:3], s56, s56, v3
	v_div_scale_f32 v2, vcc, v3, s56, v3
	v_rcp_f32_e32 v11, v1
	v_fma_f32 v25, -v1, v11, 1.0
	v_fmac_f32_e32 v11, v25, v11
	v_mul_f32_e32 v25, v2, v11
	v_fma_f32 v26, -v1, v25, v2
	v_fmac_f32_e32 v25, v26, v11
	v_fma_f32 v1, -v1, v25, v2
	v_div_fmas_f32 v1, v1, v11, v25
                                        ; implicit-def: $vgpr25
	v_div_fixup_f32 v1, v1, s56, v3
	v_and_b32_e32 v11, 0x7f800000, v1
	v_cmp_ne_u64_e32 vcc, s[26:27], v[11:12]
	s_and_saveexec_b64 s[2:3], vcc
	s_xor_b64 s[40:41], exec, s[2:3]
	s_cbranch_execz .LBB17_173
; %bb.160:                              ;   in Loop: Header=BB17_127 Depth=2
	v_and_b32_e32 v11, 0x7fffffff, v1
	v_cmp_gt_u64_e32 vcc, s[28:29], v[11:12]
	v_and_b32_sdwa v26, v1, s71 dst_sel:DWORD dst_unused:UNUSED_PAD src0_sel:BYTE_3 src1_sel:DWORD
                                        ; implicit-def: $vgpr25
	s_and_saveexec_b64 s[2:3], vcc
	s_xor_b64 s[42:43], exec, s[2:3]
	s_cbranch_execz .LBB17_170
; %bb.161:                              ;   in Loop: Header=BB17_127 Depth=2
	v_mov_b32_e32 v25, 0
	v_cmp_ne_u32_e32 vcc, 0, v1
	s_and_saveexec_b64 s[44:45], vcc
	s_cbranch_execz .LBB17_169
; %bb.162:                              ;   in Loop: Header=BB17_127 Depth=2
	v_bfe_u32 v25, v1, 23, 8
	v_and_b32_e32 v3, 0x7fffff, v1
	v_sub_u32_e32 v1, 0x79, v25
	v_cmp_gt_u32_e32 vcc, s72, v25
	v_cndmask_b32_e32 v1, 0, v1, vcc
	v_cmp_eq_u32_e32 vcc, 0, v25
	v_cndmask_b32_e32 v27, v1, v44, vcc
	v_add_u32_e32 v1, 20, v27
	v_or_b32_e32 v11, 0x800000, v3
	v_lshlrev_b64 v[1:2], v1, -1
	v_cndmask_b32_e32 v11, v11, v3, vcc
	v_bfi_b32 v28, v1, 0, v11
	v_add_u32_e32 v1, 19, v27
	v_bfi_b32 v29, v2, 0, 0
	v_lshlrev_b64 v[46:47], v1, 1
	v_lshrrev_b64 v[1:2], v27, v[11:12]
	v_cmp_eq_u64_e64 s[2:3], v[28:29], v[46:47]
	v_mov_b32_e32 v3, v2
	v_mov_b32_e32 v2, v1
	s_and_saveexec_b64 s[46:47], s[2:3]
; %bb.163:                              ;   in Loop: Header=BB17_127 Depth=2
	v_bfe_u32 v2, v1, 20, 1
	v_add_co_u32_e64 v2, s[2:3], v1, v2
	v_add_co_u32_e64 v2, s[2:3], -1, v2
; %bb.164:                              ;   in Loop: Header=BB17_127 Depth=2
	s_or_b64 exec, exec, s[46:47]
	v_add_u32_e32 v3, 0xffffff81, v25
	v_cndmask_b32_e32 v3, v3, v45, vcc
	v_lshrrev_b32_e32 v11, 23, v1
	v_add3_u32 v27, v27, v3, v11
	v_add_u32_e32 v25, 6, v27
	v_and_b32_e32 v2, 0xfffff, v2
	v_add_u32_e32 v11, v2, v1
	v_cmp_ne_u32_e32 vcc, 0, v25
                                        ; implicit-def: $vgpr1_vgpr2
                                        ; implicit-def: $vgpr3
	s_and_saveexec_b64 s[2:3], vcc
	s_xor_b64 s[2:3], exec, s[2:3]
; %bb.165:                              ;   in Loop: Header=BB17_127 Depth=2
	v_cmp_lt_u64_e32 vcc, s[30:31], v[11:12]
	v_add_u32_e32 v1, 7, v27
	v_cndmask_b32_e32 v3, v25, v1, vcc
	v_cndmask_b32_e64 v1, 0, 1, vcc
	v_lshrrev_b64 v[1:2], v1, v[11:12]
; %bb.166:                              ;   in Loop: Header=BB17_127 Depth=2
	s_andn2_saveexec_b64 s[2:3], s[2:3]
; %bb.167:                              ;   in Loop: Header=BB17_127 Depth=2
	v_mov_b32_e32 v1, v11
	v_bfe_u32 v3, v11, 23, 1
	v_mov_b32_e32 v2, v12
; %bb.168:                              ;   in Loop: Header=BB17_127 Depth=2
	s_or_b64 exec, exec, s[2:3]
	v_lshrrev_b64 v[1:2], 20, v[1:2]
	v_cmp_gt_i32_e32 vcc, 16, v3
	v_cndmask_b32_e32 v2, 0, v2, vcc
	v_cndmask_b32_e32 v1, 7, v1, vcc
	v_cmp_eq_u64_e64 s[2:3], 0, v[1:2]
	v_min_i32_e32 v2, 15, v3
	v_lshlrev_b32_e32 v2, 3, v2
	v_cmp_eq_u32_e32 vcc, 0, v3
	v_and_b32_e32 v2, 0xf8, v2
	v_and_or_b32 v1, v1, 7, v2
	s_and_b64 s[2:3], vcc, s[2:3]
	v_cndmask_b32_e64 v1, v1, 0, s[2:3]
	v_or_b32_e32 v25, v1, v26
.LBB17_169:                             ;   in Loop: Header=BB17_127 Depth=2
	s_or_b64 exec, exec, s[44:45]
                                        ; implicit-def: $vgpr26
.LBB17_170:                             ;   in Loop: Header=BB17_127 Depth=2
	s_andn2_saveexec_b64 s[2:3], s[42:43]
; %bb.171:                              ;   in Loop: Header=BB17_127 Depth=2
	v_or_b32_e32 v25, 0x7e, v26
; %bb.172:                              ;   in Loop: Header=BB17_127 Depth=2
	s_or_b64 exec, exec, s[2:3]
                                        ; implicit-def: $vgpr1
.LBB17_173:                             ;   in Loop: Header=BB17_127 Depth=2
	s_andn2_saveexec_b64 s[2:3], s[40:41]
; %bb.174:                              ;   in Loop: Header=BB17_127 Depth=2
	v_or_b32_sdwa v25, v1, s73 dst_sel:DWORD dst_unused:UNUSED_PAD src0_sel:BYTE_3 src1_sel:DWORD
; %bb.175:                              ;   in Loop: Header=BB17_127 Depth=2
	s_or_b64 exec, exec, s[2:3]
	v_div_scale_f32 v1, s[2:3], s56, s56, v4
	v_div_scale_f32 v2, vcc, v4, s56, v4
	v_rcp_f32_e32 v3, v1
	v_fma_f32 v11, -v1, v3, 1.0
	v_fmac_f32_e32 v3, v11, v3
	v_mul_f32_e32 v11, v2, v3
	v_fma_f32 v26, -v1, v11, v2
	v_fmac_f32_e32 v11, v26, v3
	v_fma_f32 v1, -v1, v11, v2
	v_div_fmas_f32 v1, v1, v3, v11
	v_div_fixup_f32 v2, v1, s56, v4
	v_and_b32_e32 v11, 0x7f800000, v2
	v_cmp_ne_u64_e32 vcc, s[26:27], v[11:12]
                                        ; implicit-def: $vgpr1
	s_and_saveexec_b64 s[2:3], vcc
	s_xor_b64 s[40:41], exec, s[2:3]
	s_cbranch_execz .LBB17_189
; %bb.176:                              ;   in Loop: Header=BB17_127 Depth=2
	v_and_b32_e32 v11, 0x7fffffff, v2
	v_cmp_gt_u64_e32 vcc, s[28:29], v[11:12]
	v_and_b32_sdwa v4, v2, s71 dst_sel:DWORD dst_unused:UNUSED_PAD src0_sel:BYTE_3 src1_sel:DWORD
                                        ; implicit-def: $vgpr1
	s_and_saveexec_b64 s[2:3], vcc
	s_xor_b64 s[42:43], exec, s[2:3]
	s_cbranch_execz .LBB17_186
; %bb.177:                              ;   in Loop: Header=BB17_127 Depth=2
	v_mov_b32_e32 v1, 0
	v_cmp_ne_u32_e32 vcc, 0, v2
	s_and_saveexec_b64 s[44:45], vcc
	s_cbranch_execz .LBB17_185
; %bb.178:                              ;   in Loop: Header=BB17_127 Depth=2
	v_bfe_u32 v26, v2, 23, 8
	v_sub_u32_e32 v1, 0x79, v26
	v_cmp_gt_u32_e32 vcc, s72, v26
	v_cndmask_b32_e32 v1, 0, v1, vcc
	v_cmp_eq_u32_e32 vcc, 0, v26
	v_cndmask_b32_e32 v27, v1, v44, vcc
	v_and_b32_e32 v3, 0x7fffff, v2
	v_add_u32_e32 v1, 20, v27
	v_or_b32_e32 v11, 0x800000, v3
	v_lshlrev_b64 v[1:2], v1, -1
	v_cndmask_b32_e32 v11, v11, v3, vcc
	v_bfi_b32 v28, v1, 0, v11
	v_add_u32_e32 v1, 19, v27
	v_bfi_b32 v29, v2, 0, 0
	v_lshlrev_b64 v[46:47], v1, 1
	v_lshrrev_b64 v[1:2], v27, v[11:12]
	v_cmp_eq_u64_e64 s[2:3], v[28:29], v[46:47]
	v_mov_b32_e32 v3, v2
	v_mov_b32_e32 v2, v1
	s_and_saveexec_b64 s[46:47], s[2:3]
; %bb.179:                              ;   in Loop: Header=BB17_127 Depth=2
	v_bfe_u32 v2, v1, 20, 1
	v_add_co_u32_e64 v2, s[2:3], v1, v2
	v_add_co_u32_e64 v2, s[2:3], -1, v2
; %bb.180:                              ;   in Loop: Header=BB17_127 Depth=2
	s_or_b64 exec, exec, s[46:47]
	v_add_u32_e32 v3, 0xffffff81, v26
	v_cndmask_b32_e32 v3, v3, v45, vcc
	v_lshrrev_b32_e32 v11, 23, v1
	v_add3_u32 v27, v27, v3, v11
	v_add_u32_e32 v26, 6, v27
	v_and_b32_e32 v2, 0xfffff, v2
	v_add_u32_e32 v11, v2, v1
	v_cmp_ne_u32_e32 vcc, 0, v26
                                        ; implicit-def: $vgpr1_vgpr2
                                        ; implicit-def: $vgpr3
	s_and_saveexec_b64 s[2:3], vcc
	s_xor_b64 s[2:3], exec, s[2:3]
; %bb.181:                              ;   in Loop: Header=BB17_127 Depth=2
	v_cmp_lt_u64_e32 vcc, s[30:31], v[11:12]
	v_add_u32_e32 v1, 7, v27
	v_cndmask_b32_e32 v3, v26, v1, vcc
	v_cndmask_b32_e64 v1, 0, 1, vcc
	v_lshrrev_b64 v[1:2], v1, v[11:12]
; %bb.182:                              ;   in Loop: Header=BB17_127 Depth=2
	s_andn2_saveexec_b64 s[2:3], s[2:3]
; %bb.183:                              ;   in Loop: Header=BB17_127 Depth=2
	v_mov_b32_e32 v1, v11
	v_bfe_u32 v3, v11, 23, 1
	v_mov_b32_e32 v2, v12
; %bb.184:                              ;   in Loop: Header=BB17_127 Depth=2
	s_or_b64 exec, exec, s[2:3]
	v_lshrrev_b64 v[1:2], 20, v[1:2]
	v_cmp_gt_i32_e32 vcc, 16, v3
	v_cndmask_b32_e32 v2, 0, v2, vcc
	v_cndmask_b32_e32 v1, 7, v1, vcc
	v_cmp_eq_u64_e64 s[2:3], 0, v[1:2]
	v_min_i32_e32 v2, 15, v3
	v_lshlrev_b32_e32 v2, 3, v2
	v_cmp_eq_u32_e32 vcc, 0, v3
	v_and_b32_e32 v2, 0xf8, v2
	v_and_or_b32 v1, v1, 7, v2
	s_and_b64 s[2:3], vcc, s[2:3]
	v_cndmask_b32_e64 v1, v1, 0, s[2:3]
	v_or_b32_e32 v1, v1, v4
.LBB17_185:                             ;   in Loop: Header=BB17_127 Depth=2
	s_or_b64 exec, exec, s[44:45]
                                        ; implicit-def: $vgpr4
.LBB17_186:                             ;   in Loop: Header=BB17_127 Depth=2
	s_andn2_saveexec_b64 s[2:3], s[42:43]
; %bb.187:                              ;   in Loop: Header=BB17_127 Depth=2
	v_or_b32_e32 v1, 0x7e, v4
; %bb.188:                              ;   in Loop: Header=BB17_127 Depth=2
	s_or_b64 exec, exec, s[2:3]
                                        ; implicit-def: $vgpr2
.LBB17_189:                             ;   in Loop: Header=BB17_127 Depth=2
	s_andn2_saveexec_b64 s[2:3], s[40:41]
	s_cbranch_execz .LBB17_126
; %bb.190:                              ;   in Loop: Header=BB17_127 Depth=2
	v_or_b32_sdwa v1, v2, s73 dst_sel:DWORD dst_unused:UNUSED_PAD src0_sel:BYTE_3 src1_sel:DWORD
	s_branch .LBB17_126
.LBB17_191:                             ;   in Loop: Header=BB17_9 Depth=1
	s_or_b64 exec, exec, s[36:37]
.LBB17_192:                             ;   in Loop: Header=BB17_9 Depth=1
	s_or_b64 exec, exec, s[34:35]
	v_mov_b32_e32 v2, s61
	v_add_co_u32_e32 v1, vcc, s55, v18
	v_addc_co_u32_e32 v2, vcc, v2, v19, vcc
	v_and_b32_e32 v11, 15, v1
	v_cmp_ne_u64_e32 vcc, 0, v[11:12]
	s_or_b64 s[2:3], s[18:19], vcc
	s_and_saveexec_b64 s[34:35], s[2:3]
	s_xor_b64 s[34:35], exec, s[34:35]
	s_cbranch_execz .LBB17_306
; %bb.193:                              ;   in Loop: Header=BB17_9 Depth=1
	v_sub_u32_e32 v3, 0, v1
	v_bfe_u32 v3, v3, 2, 2
	v_min_i32_e32 v17, s25, v3
	v_cmp_lt_i32_e32 vcc, v31, v17
	s_and_saveexec_b64 s[36:37], vcc
	s_cbranch_execz .LBB17_215
; %bb.194:                              ;   in Loop: Header=BB17_9 Depth=1
	v_lshlrev_b32_e32 v3, 2, v31
	v_add_co_u32_e32 v1, vcc, v1, v3
	v_addc_co_u32_e32 v2, vcc, 0, v2, vcc
	global_load_dword v1, v[1:2], off
	s_waitcnt vmcnt(0)
	v_div_scale_f32 v2, s[2:3], s33, s33, v1
	v_div_scale_f32 v3, vcc, v1, s33, v1
	v_rcp_f32_e32 v4, v2
	v_fma_f32 v10, -v2, v4, 1.0
	v_fmac_f32_e32 v4, v10, v4
	v_mul_f32_e32 v10, v3, v4
	v_fma_f32 v11, -v2, v10, v3
	v_fmac_f32_e32 v10, v11, v4
	v_fma_f32 v2, -v2, v10, v3
	v_div_fmas_f32 v2, v2, v4, v10
	v_div_fixup_f32 v1, v2, s33, v1
	v_and_b32_e32 v11, 0x7f800000, v1
	v_cmp_ne_u64_e32 vcc, s[26:27], v[11:12]
                                        ; implicit-def: $vgpr2
	s_and_saveexec_b64 s[2:3], vcc
	s_xor_b64 s[38:39], exec, s[2:3]
	s_cbranch_execz .LBB17_212
; %bb.195:                              ;   in Loop: Header=BB17_9 Depth=1
	v_and_b32_e32 v11, 0x7fffffff, v1
	v_cmp_gt_u64_e32 vcc, s[28:29], v[11:12]
	v_and_b32_sdwa v4, v1, s71 dst_sel:DWORD dst_unused:UNUSED_PAD src0_sel:BYTE_3 src1_sel:DWORD
                                        ; implicit-def: $vgpr2
	s_and_saveexec_b64 s[2:3], vcc
	s_xor_b64 s[40:41], exec, s[2:3]
	s_cbranch_execz .LBB17_209
; %bb.196:                              ;   in Loop: Header=BB17_9 Depth=1
	v_cmp_ne_u32_e32 vcc, 0, v1
	v_mov_b32_e32 v2, 0
	s_and_saveexec_b64 s[42:43], vcc
	s_cbranch_execz .LBB17_208
; %bb.197:                              ;   in Loop: Header=BB17_9 Depth=1
	v_bfe_u32 v10, v1, 23, 8
	v_and_b32_e32 v3, 0x7fffff, v1
	v_sub_u32_e32 v1, 0x79, v10
	v_cmp_gt_u32_e32 vcc, s72, v10
	v_cndmask_b32_e32 v1, 0, v1, vcc
	v_cmp_eq_u32_e32 vcc, 0, v10
	v_cndmask_b32_e32 v18, v1, v44, vcc
	v_add_u32_e32 v1, 20, v18
	v_or_b32_e32 v11, 0x800000, v3
	v_lshlrev_b64 v[1:2], v1, -1
	v_cndmask_b32_e32 v11, v11, v3, vcc
	v_bfi_b32 v19, v1, 0, v11
	v_add_u32_e32 v1, 19, v18
	v_bfi_b32 v20, v2, 0, 0
	v_lshlrev_b64 v[21:22], v1, 1
	v_lshrrev_b64 v[1:2], v18, v[11:12]
	v_cmp_eq_u64_e64 s[2:3], v[19:20], v[21:22]
	v_mov_b32_e32 v3, v2
	v_mov_b32_e32 v2, v1
	s_and_saveexec_b64 s[44:45], s[2:3]
; %bb.198:                              ;   in Loop: Header=BB17_9 Depth=1
	v_bfe_u32 v2, v1, 20, 1
	v_add_co_u32_e64 v2, s[2:3], v1, v2
	v_add_co_u32_e64 v2, s[2:3], -1, v2
; %bb.199:                              ;   in Loop: Header=BB17_9 Depth=1
	s_or_b64 exec, exec, s[44:45]
	v_add_u32_e32 v3, 0xffffff81, v10
	v_cndmask_b32_e32 v3, v3, v45, vcc
	v_lshrrev_b32_e32 v10, 23, v1
	v_add3_u32 v18, v18, v3, v10
	v_add_u32_e32 v10, 6, v18
	v_and_b32_e32 v2, 0xfffff, v2
	v_add_u32_e32 v11, v2, v1
	v_cmp_ne_u32_e32 vcc, 0, v10
                                        ; implicit-def: $vgpr1_vgpr2
                                        ; implicit-def: $vgpr3
	s_and_saveexec_b64 s[2:3], vcc
	s_xor_b64 s[2:3], exec, s[2:3]
; %bb.200:                              ;   in Loop: Header=BB17_9 Depth=1
	v_cmp_lt_u64_e32 vcc, s[30:31], v[11:12]
	v_add_u32_e32 v1, 7, v18
	v_cndmask_b32_e32 v3, v10, v1, vcc
	v_cndmask_b32_e64 v1, 0, 1, vcc
	v_lshrrev_b64 v[1:2], v1, v[11:12]
; %bb.201:                              ;   in Loop: Header=BB17_9 Depth=1
	s_andn2_saveexec_b64 s[2:3], s[2:3]
; %bb.202:                              ;   in Loop: Header=BB17_9 Depth=1
	v_mov_b32_e32 v1, v11
	v_bfe_u32 v3, v11, 23, 1
	v_mov_b32_e32 v2, v12
; %bb.203:                              ;   in Loop: Header=BB17_9 Depth=1
	s_or_b64 exec, exec, s[2:3]
	v_lshrrev_b64 v[1:2], 20, v[1:2]
	v_cmp_gt_i32_e32 vcc, 16, v3
	v_cndmask_b32_e32 v2, 0, v2, vcc
	v_cndmask_b32_e32 v1, 7, v1, vcc
	v_cmp_ne_u64_e32 vcc, 0, v[1:2]
	v_cmp_ne_u32_e64 s[2:3], 0, v3
	s_or_b64 s[2:3], s[2:3], vcc
                                        ; implicit-def: $vgpr2
	s_and_saveexec_b64 s[44:45], s[2:3]
	s_xor_b64 s[2:3], exec, s[44:45]
; %bb.204:                              ;   in Loop: Header=BB17_9 Depth=1
	v_min_i32_e32 v2, 15, v3
	v_lshl_or_b32 v2, v2, 3, v4
	v_and_or_b32 v2, v1, 7, v2
                                        ; implicit-def: $vgpr4
; %bb.205:                              ;   in Loop: Header=BB17_9 Depth=1
	s_andn2_saveexec_b64 s[2:3], s[2:3]
; %bb.206:                              ;   in Loop: Header=BB17_9 Depth=1
	v_mov_b32_e32 v2, v4
; %bb.207:                              ;   in Loop: Header=BB17_9 Depth=1
	s_or_b64 exec, exec, s[2:3]
.LBB17_208:                             ;   in Loop: Header=BB17_9 Depth=1
	s_or_b64 exec, exec, s[42:43]
                                        ; implicit-def: $vgpr4
.LBB17_209:                             ;   in Loop: Header=BB17_9 Depth=1
	s_andn2_saveexec_b64 s[2:3], s[40:41]
; %bb.210:                              ;   in Loop: Header=BB17_9 Depth=1
	v_or_b32_e32 v2, 0x7e, v4
; %bb.211:                              ;   in Loop: Header=BB17_9 Depth=1
	s_or_b64 exec, exec, s[2:3]
                                        ; implicit-def: $vgpr1
.LBB17_212:                             ;   in Loop: Header=BB17_9 Depth=1
	s_andn2_saveexec_b64 s[2:3], s[38:39]
; %bb.213:                              ;   in Loop: Header=BB17_9 Depth=1
	v_or_b32_sdwa v2, v1, s73 dst_sel:DWORD dst_unused:UNUSED_PAD src0_sel:BYTE_3 src1_sel:DWORD
; %bb.214:                              ;   in Loop: Header=BB17_9 Depth=1
	s_or_b64 exec, exec, s[2:3]
	v_mov_b32_e32 v1, s54
	v_add_co_u32_e32 v3, vcc, s53, v15
	v_addc_co_u32_e32 v1, vcc, v1, v16, vcc
	v_add_co_u32_e32 v3, vcc, v3, v31
	v_addc_co_u32_e32 v4, vcc, 0, v1, vcc
	global_store_byte v[3:4], v2, off
.LBB17_215:                             ;   in Loop: Header=BB17_9 Depth=1
	s_or_b64 exec, exec, s[36:37]
	v_sub_u32_e32 v25, s25, v17
	v_ashrrev_i32_e32 v1, 31, v25
	v_lshrrev_b32_e32 v1, 30, v1
	v_ashrrev_i32_e32 v18, 31, v17
	v_add_u32_e32 v1, v25, v1
	v_ashrrev_i32_e32 v26, 2, v1
	v_lshlrev_b64 v[15:16], 2, v[17:18]
	v_cmp_lt_i32_e32 vcc, v31, v26
	s_and_saveexec_b64 s[36:37], vcc
	s_cbranch_execz .LBB17_282
; %bb.216:                              ;   in Loop: Header=BB17_9 Depth=1
	v_add_co_u32_e32 v19, vcc, v7, v17
	v_addc_co_u32_e32 v20, vcc, v8, v18, vcc
	v_add_co_u32_e32 v1, vcc, v15, v13
	v_addc_co_u32_e32 v2, vcc, v16, v14, vcc
	;; [unrolled: 2-line block ×3, first 2 shown]
	s_mov_b64 s[38:39], 0
	v_mov_b32_e32 v27, v31
	s_branch .LBB17_218
.LBB17_217:                             ;   in Loop: Header=BB17_218 Depth=2
	s_or_b64 exec, exec, s[2:3]
	v_lshlrev_b32_e32 v1, 24, v1
	v_lshlrev_b32_e32 v2, 16, v24
	v_lshl_or_b32 v3, v10, 8, v23
	v_or3_b32 v1, v3, v2, v1
	global_store_dword v[19:20], v1, off
	v_add_co_u32_e32 v19, vcc, 0x80, v19
	v_add_u32_e32 v27, 32, v27
	v_addc_co_u32_e32 v20, vcc, 0, v20, vcc
	v_add_co_u32_e32 v21, vcc, 0x200, v21
	v_cmp_ge_i32_e64 s[2:3], v27, v26
	s_or_b64 s[38:39], s[2:3], s[38:39]
	v_addc_co_u32_e32 v22, vcc, 0, v22, vcc
	s_andn2_b64 exec, exec, s[38:39]
	s_cbranch_execz .LBB17_282
.LBB17_218:                             ;   Parent Loop BB17_9 Depth=1
                                        ; =>  This Inner Loop Header: Depth=2
	global_load_dwordx4 v[1:4], v[21:22], off
	s_waitcnt vmcnt(0)
	v_div_scale_f32 v10, s[2:3], s33, s33, v1
	v_div_scale_f32 v11, vcc, v1, s33, v1
	v_rcp_f32_e32 v23, v10
	v_fma_f32 v24, -v10, v23, 1.0
	v_fmac_f32_e32 v23, v24, v23
	v_mul_f32_e32 v24, v11, v23
	v_fma_f32 v28, -v10, v24, v11
	v_fmac_f32_e32 v24, v28, v23
	v_fma_f32 v10, -v10, v24, v11
	v_div_fmas_f32 v10, v10, v23, v24
                                        ; implicit-def: $vgpr23
	v_div_fixup_f32 v10, v10, s33, v1
	v_and_b32_e32 v11, 0x7f800000, v10
	v_cmp_ne_u64_e32 vcc, s[26:27], v[11:12]
	s_and_saveexec_b64 s[2:3], vcc
	s_xor_b64 s[40:41], exec, s[2:3]
	s_cbranch_execz .LBB17_232
; %bb.219:                              ;   in Loop: Header=BB17_218 Depth=2
	v_and_b32_e32 v11, 0x7fffffff, v10
	v_cmp_gt_u64_e32 vcc, s[28:29], v[11:12]
	v_and_b32_sdwa v1, v10, s71 dst_sel:DWORD dst_unused:UNUSED_PAD src0_sel:BYTE_3 src1_sel:DWORD
                                        ; implicit-def: $vgpr23
	s_and_saveexec_b64 s[2:3], vcc
	s_xor_b64 s[42:43], exec, s[2:3]
	s_cbranch_execz .LBB17_229
; %bb.220:                              ;   in Loop: Header=BB17_218 Depth=2
	v_mov_b32_e32 v23, 0
	v_cmp_ne_u32_e32 vcc, 0, v10
	s_and_saveexec_b64 s[44:45], vcc
	s_cbranch_execz .LBB17_228
; %bb.221:                              ;   in Loop: Header=BB17_218 Depth=2
	v_bfe_u32 v28, v10, 23, 8
	v_and_b32_e32 v11, 0x7fffff, v10
	v_sub_u32_e32 v10, 0x79, v28
	v_cmp_gt_u32_e32 vcc, s72, v28
	v_cndmask_b32_e32 v10, 0, v10, vcc
	v_cmp_eq_u32_e32 vcc, 0, v28
	v_cndmask_b32_e32 v29, v10, v44, vcc
	v_add_u32_e32 v10, 20, v29
	v_or_b32_e32 v46, 0x800000, v11
	v_lshlrev_b64 v[23:24], v10, -1
	v_cndmask_b32_e32 v11, v46, v11, vcc
	v_add_u32_e32 v10, 19, v29
	v_bfi_b32 v23, v23, 0, v11
	v_lshlrev_b64 v[46:47], v10, 1
	v_lshrrev_b64 v[10:11], v29, v[11:12]
	v_bfi_b32 v24, v24, 0, 0
	v_cmp_eq_u64_e64 s[2:3], v[23:24], v[46:47]
	v_mov_b32_e32 v24, v11
	v_mov_b32_e32 v23, v10
	s_and_saveexec_b64 s[46:47], s[2:3]
; %bb.222:                              ;   in Loop: Header=BB17_218 Depth=2
	v_bfe_u32 v11, v10, 20, 1
	v_add_co_u32_e64 v11, s[2:3], v10, v11
	v_add_co_u32_e64 v23, s[2:3], -1, v11
; %bb.223:                              ;   in Loop: Header=BB17_218 Depth=2
	s_or_b64 exec, exec, s[46:47]
	v_add_u32_e32 v11, 0xffffff81, v28
	v_cndmask_b32_e32 v11, v11, v45, vcc
	v_lshrrev_b32_e32 v24, 23, v10
	v_add3_u32 v29, v29, v11, v24
	v_add_u32_e32 v28, 6, v29
	v_and_b32_e32 v11, 0xfffff, v23
	v_add_u32_e32 v11, v11, v10
	v_cmp_ne_u32_e32 vcc, 0, v28
                                        ; implicit-def: $vgpr23_vgpr24
                                        ; implicit-def: $vgpr10
	s_and_saveexec_b64 s[2:3], vcc
	s_xor_b64 s[2:3], exec, s[2:3]
; %bb.224:                              ;   in Loop: Header=BB17_218 Depth=2
	v_cmp_lt_u64_e32 vcc, s[30:31], v[11:12]
	v_add_u32_e32 v10, 7, v29
	v_cndmask_b32_e64 v23, 0, 1, vcc
	v_cndmask_b32_e32 v10, v28, v10, vcc
	v_lshrrev_b64 v[23:24], v23, v[11:12]
; %bb.225:                              ;   in Loop: Header=BB17_218 Depth=2
	s_andn2_saveexec_b64 s[2:3], s[2:3]
; %bb.226:                              ;   in Loop: Header=BB17_218 Depth=2
	v_mov_b32_e32 v24, v12
	v_bfe_u32 v10, v11, 23, 1
	v_mov_b32_e32 v23, v11
; %bb.227:                              ;   in Loop: Header=BB17_218 Depth=2
	s_or_b64 exec, exec, s[2:3]
	v_lshrrev_b64 v[23:24], 20, v[23:24]
	v_cmp_gt_i32_e32 vcc, 16, v10
	v_cndmask_b32_e32 v24, 0, v24, vcc
	v_cndmask_b32_e32 v23, 7, v23, vcc
	v_cmp_eq_u32_e32 vcc, 0, v10
	v_min_i32_e32 v10, 15, v10
	v_cmp_eq_u64_e64 s[2:3], 0, v[23:24]
	v_lshlrev_b32_e32 v10, 3, v10
	v_and_b32_e32 v10, 0xf8, v10
	v_and_or_b32 v10, v23, 7, v10
	s_and_b64 s[2:3], vcc, s[2:3]
	v_cndmask_b32_e64 v10, v10, 0, s[2:3]
	v_or_b32_e32 v23, v10, v1
.LBB17_228:                             ;   in Loop: Header=BB17_218 Depth=2
	s_or_b64 exec, exec, s[44:45]
                                        ; implicit-def: $vgpr1
.LBB17_229:                             ;   in Loop: Header=BB17_218 Depth=2
	s_andn2_saveexec_b64 s[2:3], s[42:43]
; %bb.230:                              ;   in Loop: Header=BB17_218 Depth=2
	v_or_b32_e32 v23, 0x7e, v1
; %bb.231:                              ;   in Loop: Header=BB17_218 Depth=2
	s_or_b64 exec, exec, s[2:3]
                                        ; implicit-def: $vgpr10
.LBB17_232:                             ;   in Loop: Header=BB17_218 Depth=2
	s_andn2_saveexec_b64 s[2:3], s[40:41]
; %bb.233:                              ;   in Loop: Header=BB17_218 Depth=2
	v_or_b32_sdwa v23, v10, s73 dst_sel:DWORD dst_unused:UNUSED_PAD src0_sel:BYTE_3 src1_sel:DWORD
; %bb.234:                              ;   in Loop: Header=BB17_218 Depth=2
	s_or_b64 exec, exec, s[2:3]
	v_div_scale_f32 v1, s[2:3], s33, s33, v2
	v_div_scale_f32 v10, vcc, v2, s33, v2
	v_rcp_f32_e32 v11, v1
	v_fma_f32 v24, -v1, v11, 1.0
	v_fmac_f32_e32 v11, v24, v11
	v_mul_f32_e32 v24, v10, v11
	v_fma_f32 v28, -v1, v24, v10
	v_fmac_f32_e32 v24, v28, v11
	v_fma_f32 v1, -v1, v24, v10
	v_div_fmas_f32 v1, v1, v11, v24
                                        ; implicit-def: $vgpr10
	v_div_fixup_f32 v1, v1, s33, v2
	v_and_b32_e32 v11, 0x7f800000, v1
	v_cmp_ne_u64_e32 vcc, s[26:27], v[11:12]
	s_and_saveexec_b64 s[2:3], vcc
	s_xor_b64 s[40:41], exec, s[2:3]
	s_cbranch_execz .LBB17_248
; %bb.235:                              ;   in Loop: Header=BB17_218 Depth=2
	v_and_b32_e32 v11, 0x7fffffff, v1
	v_cmp_gt_u64_e32 vcc, s[28:29], v[11:12]
	v_and_b32_sdwa v24, v1, s71 dst_sel:DWORD dst_unused:UNUSED_PAD src0_sel:BYTE_3 src1_sel:DWORD
                                        ; implicit-def: $vgpr10
	s_and_saveexec_b64 s[2:3], vcc
	s_xor_b64 s[42:43], exec, s[2:3]
	s_cbranch_execz .LBB17_245
; %bb.236:                              ;   in Loop: Header=BB17_218 Depth=2
	v_mov_b32_e32 v10, 0
	v_cmp_ne_u32_e32 vcc, 0, v1
	s_and_saveexec_b64 s[44:45], vcc
	s_cbranch_execz .LBB17_244
; %bb.237:                              ;   in Loop: Header=BB17_218 Depth=2
	v_bfe_u32 v28, v1, 23, 8
	v_and_b32_e32 v10, 0x7fffff, v1
	v_sub_u32_e32 v1, 0x79, v28
	v_cmp_gt_u32_e32 vcc, s72, v28
	v_cndmask_b32_e32 v1, 0, v1, vcc
	v_cmp_eq_u32_e32 vcc, 0, v28
	v_cndmask_b32_e32 v29, v1, v44, vcc
	v_add_u32_e32 v1, 20, v29
	v_or_b32_e32 v11, 0x800000, v10
	v_lshlrev_b64 v[1:2], v1, -1
	v_cndmask_b32_e32 v11, v11, v10, vcc
	v_bfi_b32 v46, v1, 0, v11
	v_add_u32_e32 v1, 19, v29
	v_bfi_b32 v47, v2, 0, 0
	v_lshlrev_b64 v[48:49], v1, 1
	v_lshrrev_b64 v[1:2], v29, v[11:12]
	v_cmp_eq_u64_e64 s[2:3], v[46:47], v[48:49]
	v_mov_b32_e32 v11, v2
	v_mov_b32_e32 v10, v1
	s_and_saveexec_b64 s[46:47], s[2:3]
; %bb.238:                              ;   in Loop: Header=BB17_218 Depth=2
	v_bfe_u32 v2, v1, 20, 1
	v_add_co_u32_e64 v2, s[2:3], v1, v2
	v_add_co_u32_e64 v10, s[2:3], -1, v2
; %bb.239:                              ;   in Loop: Header=BB17_218 Depth=2
	s_or_b64 exec, exec, s[46:47]
	v_add_u32_e32 v2, 0xffffff81, v28
	v_cndmask_b32_e32 v2, v2, v45, vcc
	v_lshrrev_b32_e32 v11, 23, v1
	v_add3_u32 v29, v29, v2, v11
	v_add_u32_e32 v28, 6, v29
	v_and_b32_e32 v2, 0xfffff, v10
	v_add_u32_e32 v11, v2, v1
	v_cmp_ne_u32_e32 vcc, 0, v28
                                        ; implicit-def: $vgpr1_vgpr2
                                        ; implicit-def: $vgpr10
	s_and_saveexec_b64 s[2:3], vcc
	s_xor_b64 s[2:3], exec, s[2:3]
; %bb.240:                              ;   in Loop: Header=BB17_218 Depth=2
	v_cmp_lt_u64_e32 vcc, s[30:31], v[11:12]
	v_add_u32_e32 v1, 7, v29
	v_cndmask_b32_e32 v10, v28, v1, vcc
	v_cndmask_b32_e64 v1, 0, 1, vcc
	v_lshrrev_b64 v[1:2], v1, v[11:12]
; %bb.241:                              ;   in Loop: Header=BB17_218 Depth=2
	s_andn2_saveexec_b64 s[2:3], s[2:3]
; %bb.242:                              ;   in Loop: Header=BB17_218 Depth=2
	v_mov_b32_e32 v1, v11
	v_bfe_u32 v10, v11, 23, 1
	v_mov_b32_e32 v2, v12
; %bb.243:                              ;   in Loop: Header=BB17_218 Depth=2
	s_or_b64 exec, exec, s[2:3]
	v_lshrrev_b64 v[1:2], 20, v[1:2]
	v_cmp_gt_i32_e32 vcc, 16, v10
	v_cndmask_b32_e32 v2, 0, v2, vcc
	v_cndmask_b32_e32 v1, 7, v1, vcc
	v_cmp_eq_u64_e64 s[2:3], 0, v[1:2]
	v_min_i32_e32 v2, 15, v10
	v_lshlrev_b32_e32 v2, 3, v2
	v_cmp_eq_u32_e32 vcc, 0, v10
	v_and_b32_e32 v2, 0xf8, v2
	v_and_or_b32 v1, v1, 7, v2
	s_and_b64 s[2:3], vcc, s[2:3]
	v_cndmask_b32_e64 v1, v1, 0, s[2:3]
	v_or_b32_e32 v10, v1, v24
.LBB17_244:                             ;   in Loop: Header=BB17_218 Depth=2
	s_or_b64 exec, exec, s[44:45]
                                        ; implicit-def: $vgpr24
.LBB17_245:                             ;   in Loop: Header=BB17_218 Depth=2
	s_andn2_saveexec_b64 s[2:3], s[42:43]
; %bb.246:                              ;   in Loop: Header=BB17_218 Depth=2
	v_or_b32_e32 v10, 0x7e, v24
; %bb.247:                              ;   in Loop: Header=BB17_218 Depth=2
	s_or_b64 exec, exec, s[2:3]
                                        ; implicit-def: $vgpr1
.LBB17_248:                             ;   in Loop: Header=BB17_218 Depth=2
	s_andn2_saveexec_b64 s[2:3], s[40:41]
; %bb.249:                              ;   in Loop: Header=BB17_218 Depth=2
	v_or_b32_sdwa v10, v1, s73 dst_sel:DWORD dst_unused:UNUSED_PAD src0_sel:BYTE_3 src1_sel:DWORD
; %bb.250:                              ;   in Loop: Header=BB17_218 Depth=2
	s_or_b64 exec, exec, s[2:3]
	v_div_scale_f32 v1, s[2:3], s33, s33, v3
	v_div_scale_f32 v2, vcc, v3, s33, v3
	v_rcp_f32_e32 v11, v1
	v_fma_f32 v24, -v1, v11, 1.0
	v_fmac_f32_e32 v11, v24, v11
	v_mul_f32_e32 v24, v2, v11
	v_fma_f32 v28, -v1, v24, v2
	v_fmac_f32_e32 v24, v28, v11
	v_fma_f32 v1, -v1, v24, v2
	v_div_fmas_f32 v1, v1, v11, v24
                                        ; implicit-def: $vgpr24
	v_div_fixup_f32 v1, v1, s33, v3
	v_and_b32_e32 v11, 0x7f800000, v1
	v_cmp_ne_u64_e32 vcc, s[26:27], v[11:12]
	s_and_saveexec_b64 s[2:3], vcc
	s_xor_b64 s[40:41], exec, s[2:3]
	s_cbranch_execz .LBB17_264
; %bb.251:                              ;   in Loop: Header=BB17_218 Depth=2
	v_and_b32_e32 v11, 0x7fffffff, v1
	v_cmp_gt_u64_e32 vcc, s[28:29], v[11:12]
	v_and_b32_sdwa v28, v1, s71 dst_sel:DWORD dst_unused:UNUSED_PAD src0_sel:BYTE_3 src1_sel:DWORD
                                        ; implicit-def: $vgpr24
	s_and_saveexec_b64 s[2:3], vcc
	s_xor_b64 s[42:43], exec, s[2:3]
	s_cbranch_execz .LBB17_261
; %bb.252:                              ;   in Loop: Header=BB17_218 Depth=2
	v_mov_b32_e32 v24, 0
	v_cmp_ne_u32_e32 vcc, 0, v1
	s_and_saveexec_b64 s[44:45], vcc
	s_cbranch_execz .LBB17_260
; %bb.253:                              ;   in Loop: Header=BB17_218 Depth=2
	v_bfe_u32 v24, v1, 23, 8
	v_and_b32_e32 v3, 0x7fffff, v1
	v_sub_u32_e32 v1, 0x79, v24
	v_cmp_gt_u32_e32 vcc, s72, v24
	v_cndmask_b32_e32 v1, 0, v1, vcc
	v_cmp_eq_u32_e32 vcc, 0, v24
	v_cndmask_b32_e32 v29, v1, v44, vcc
	v_add_u32_e32 v1, 20, v29
	v_or_b32_e32 v11, 0x800000, v3
	v_lshlrev_b64 v[1:2], v1, -1
	v_cndmask_b32_e32 v11, v11, v3, vcc
	v_bfi_b32 v46, v1, 0, v11
	v_add_u32_e32 v1, 19, v29
	v_bfi_b32 v47, v2, 0, 0
	v_lshlrev_b64 v[48:49], v1, 1
	v_lshrrev_b64 v[1:2], v29, v[11:12]
	v_cmp_eq_u64_e64 s[2:3], v[46:47], v[48:49]
	v_mov_b32_e32 v3, v2
	v_mov_b32_e32 v2, v1
	s_and_saveexec_b64 s[46:47], s[2:3]
; %bb.254:                              ;   in Loop: Header=BB17_218 Depth=2
	v_bfe_u32 v2, v1, 20, 1
	v_add_co_u32_e64 v2, s[2:3], v1, v2
	v_add_co_u32_e64 v2, s[2:3], -1, v2
; %bb.255:                              ;   in Loop: Header=BB17_218 Depth=2
	s_or_b64 exec, exec, s[46:47]
	v_add_u32_e32 v3, 0xffffff81, v24
	v_cndmask_b32_e32 v3, v3, v45, vcc
	v_lshrrev_b32_e32 v11, 23, v1
	v_add3_u32 v29, v29, v3, v11
	v_add_u32_e32 v24, 6, v29
	v_and_b32_e32 v2, 0xfffff, v2
	v_add_u32_e32 v11, v2, v1
	v_cmp_ne_u32_e32 vcc, 0, v24
                                        ; implicit-def: $vgpr1_vgpr2
                                        ; implicit-def: $vgpr3
	s_and_saveexec_b64 s[2:3], vcc
	s_xor_b64 s[2:3], exec, s[2:3]
; %bb.256:                              ;   in Loop: Header=BB17_218 Depth=2
	v_cmp_lt_u64_e32 vcc, s[30:31], v[11:12]
	v_add_u32_e32 v1, 7, v29
	v_cndmask_b32_e32 v3, v24, v1, vcc
	v_cndmask_b32_e64 v1, 0, 1, vcc
	v_lshrrev_b64 v[1:2], v1, v[11:12]
; %bb.257:                              ;   in Loop: Header=BB17_218 Depth=2
	s_andn2_saveexec_b64 s[2:3], s[2:3]
; %bb.258:                              ;   in Loop: Header=BB17_218 Depth=2
	v_mov_b32_e32 v1, v11
	v_bfe_u32 v3, v11, 23, 1
	v_mov_b32_e32 v2, v12
; %bb.259:                              ;   in Loop: Header=BB17_218 Depth=2
	s_or_b64 exec, exec, s[2:3]
	v_lshrrev_b64 v[1:2], 20, v[1:2]
	v_cmp_gt_i32_e32 vcc, 16, v3
	v_cndmask_b32_e32 v2, 0, v2, vcc
	v_cndmask_b32_e32 v1, 7, v1, vcc
	v_cmp_eq_u64_e64 s[2:3], 0, v[1:2]
	v_min_i32_e32 v2, 15, v3
	v_lshlrev_b32_e32 v2, 3, v2
	v_cmp_eq_u32_e32 vcc, 0, v3
	v_and_b32_e32 v2, 0xf8, v2
	v_and_or_b32 v1, v1, 7, v2
	s_and_b64 s[2:3], vcc, s[2:3]
	v_cndmask_b32_e64 v1, v1, 0, s[2:3]
	v_or_b32_e32 v24, v1, v28
.LBB17_260:                             ;   in Loop: Header=BB17_218 Depth=2
	s_or_b64 exec, exec, s[44:45]
                                        ; implicit-def: $vgpr28
.LBB17_261:                             ;   in Loop: Header=BB17_218 Depth=2
	s_andn2_saveexec_b64 s[2:3], s[42:43]
; %bb.262:                              ;   in Loop: Header=BB17_218 Depth=2
	v_or_b32_e32 v24, 0x7e, v28
; %bb.263:                              ;   in Loop: Header=BB17_218 Depth=2
	s_or_b64 exec, exec, s[2:3]
                                        ; implicit-def: $vgpr1
.LBB17_264:                             ;   in Loop: Header=BB17_218 Depth=2
	s_andn2_saveexec_b64 s[2:3], s[40:41]
; %bb.265:                              ;   in Loop: Header=BB17_218 Depth=2
	v_or_b32_sdwa v24, v1, s73 dst_sel:DWORD dst_unused:UNUSED_PAD src0_sel:BYTE_3 src1_sel:DWORD
; %bb.266:                              ;   in Loop: Header=BB17_218 Depth=2
	s_or_b64 exec, exec, s[2:3]
	v_div_scale_f32 v1, s[2:3], s33, s33, v4
	v_div_scale_f32 v2, vcc, v4, s33, v4
	v_rcp_f32_e32 v3, v1
	v_fma_f32 v11, -v1, v3, 1.0
	v_fmac_f32_e32 v3, v11, v3
	v_mul_f32_e32 v11, v2, v3
	v_fma_f32 v28, -v1, v11, v2
	v_fmac_f32_e32 v11, v28, v3
	v_fma_f32 v1, -v1, v11, v2
	v_div_fmas_f32 v1, v1, v3, v11
	v_div_fixup_f32 v2, v1, s33, v4
	v_and_b32_e32 v11, 0x7f800000, v2
	v_cmp_ne_u64_e32 vcc, s[26:27], v[11:12]
                                        ; implicit-def: $vgpr1
	s_and_saveexec_b64 s[2:3], vcc
	s_xor_b64 s[40:41], exec, s[2:3]
	s_cbranch_execz .LBB17_280
; %bb.267:                              ;   in Loop: Header=BB17_218 Depth=2
	v_and_b32_e32 v11, 0x7fffffff, v2
	v_cmp_gt_u64_e32 vcc, s[28:29], v[11:12]
	v_and_b32_sdwa v4, v2, s71 dst_sel:DWORD dst_unused:UNUSED_PAD src0_sel:BYTE_3 src1_sel:DWORD
                                        ; implicit-def: $vgpr1
	s_and_saveexec_b64 s[2:3], vcc
	s_xor_b64 s[42:43], exec, s[2:3]
	s_cbranch_execz .LBB17_277
; %bb.268:                              ;   in Loop: Header=BB17_218 Depth=2
	v_mov_b32_e32 v1, 0
	v_cmp_ne_u32_e32 vcc, 0, v2
	s_and_saveexec_b64 s[44:45], vcc
	s_cbranch_execz .LBB17_276
; %bb.269:                              ;   in Loop: Header=BB17_218 Depth=2
	v_bfe_u32 v28, v2, 23, 8
	v_sub_u32_e32 v1, 0x79, v28
	v_cmp_gt_u32_e32 vcc, s72, v28
	v_cndmask_b32_e32 v1, 0, v1, vcc
	v_cmp_eq_u32_e32 vcc, 0, v28
	v_cndmask_b32_e32 v29, v1, v44, vcc
	v_and_b32_e32 v3, 0x7fffff, v2
	v_add_u32_e32 v1, 20, v29
	v_or_b32_e32 v11, 0x800000, v3
	v_lshlrev_b64 v[1:2], v1, -1
	v_cndmask_b32_e32 v11, v11, v3, vcc
	v_bfi_b32 v46, v1, 0, v11
	v_add_u32_e32 v1, 19, v29
	v_bfi_b32 v47, v2, 0, 0
	v_lshlrev_b64 v[48:49], v1, 1
	v_lshrrev_b64 v[1:2], v29, v[11:12]
	v_cmp_eq_u64_e64 s[2:3], v[46:47], v[48:49]
	v_mov_b32_e32 v3, v2
	v_mov_b32_e32 v2, v1
	s_and_saveexec_b64 s[46:47], s[2:3]
; %bb.270:                              ;   in Loop: Header=BB17_218 Depth=2
	v_bfe_u32 v2, v1, 20, 1
	v_add_co_u32_e64 v2, s[2:3], v1, v2
	v_add_co_u32_e64 v2, s[2:3], -1, v2
; %bb.271:                              ;   in Loop: Header=BB17_218 Depth=2
	s_or_b64 exec, exec, s[46:47]
	v_add_u32_e32 v3, 0xffffff81, v28
	v_cndmask_b32_e32 v3, v3, v45, vcc
	v_lshrrev_b32_e32 v11, 23, v1
	v_add3_u32 v29, v29, v3, v11
	v_add_u32_e32 v28, 6, v29
	v_and_b32_e32 v2, 0xfffff, v2
	v_add_u32_e32 v11, v2, v1
	v_cmp_ne_u32_e32 vcc, 0, v28
                                        ; implicit-def: $vgpr1_vgpr2
                                        ; implicit-def: $vgpr3
	s_and_saveexec_b64 s[2:3], vcc
	s_xor_b64 s[2:3], exec, s[2:3]
; %bb.272:                              ;   in Loop: Header=BB17_218 Depth=2
	v_cmp_lt_u64_e32 vcc, s[30:31], v[11:12]
	v_add_u32_e32 v1, 7, v29
	v_cndmask_b32_e32 v3, v28, v1, vcc
	v_cndmask_b32_e64 v1, 0, 1, vcc
	v_lshrrev_b64 v[1:2], v1, v[11:12]
; %bb.273:                              ;   in Loop: Header=BB17_218 Depth=2
	s_andn2_saveexec_b64 s[2:3], s[2:3]
; %bb.274:                              ;   in Loop: Header=BB17_218 Depth=2
	v_mov_b32_e32 v1, v11
	v_bfe_u32 v3, v11, 23, 1
	v_mov_b32_e32 v2, v12
; %bb.275:                              ;   in Loop: Header=BB17_218 Depth=2
	s_or_b64 exec, exec, s[2:3]
	v_lshrrev_b64 v[1:2], 20, v[1:2]
	v_cmp_gt_i32_e32 vcc, 16, v3
	v_cndmask_b32_e32 v2, 0, v2, vcc
	v_cndmask_b32_e32 v1, 7, v1, vcc
	v_cmp_eq_u64_e64 s[2:3], 0, v[1:2]
	v_min_i32_e32 v2, 15, v3
	v_lshlrev_b32_e32 v2, 3, v2
	v_cmp_eq_u32_e32 vcc, 0, v3
	v_and_b32_e32 v2, 0xf8, v2
	v_and_or_b32 v1, v1, 7, v2
	s_and_b64 s[2:3], vcc, s[2:3]
	v_cndmask_b32_e64 v1, v1, 0, s[2:3]
	v_or_b32_e32 v1, v1, v4
.LBB17_276:                             ;   in Loop: Header=BB17_218 Depth=2
	s_or_b64 exec, exec, s[44:45]
                                        ; implicit-def: $vgpr4
.LBB17_277:                             ;   in Loop: Header=BB17_218 Depth=2
	s_andn2_saveexec_b64 s[2:3], s[42:43]
; %bb.278:                              ;   in Loop: Header=BB17_218 Depth=2
	v_or_b32_e32 v1, 0x7e, v4
; %bb.279:                              ;   in Loop: Header=BB17_218 Depth=2
	s_or_b64 exec, exec, s[2:3]
                                        ; implicit-def: $vgpr2
.LBB17_280:                             ;   in Loop: Header=BB17_218 Depth=2
	s_andn2_saveexec_b64 s[2:3], s[40:41]
	s_cbranch_execz .LBB17_217
; %bb.281:                              ;   in Loop: Header=BB17_218 Depth=2
	v_or_b32_sdwa v1, v2, s73 dst_sel:DWORD dst_unused:UNUSED_PAD src0_sel:BYTE_3 src1_sel:DWORD
	s_branch .LBB17_217
.LBB17_282:                             ;   in Loop: Header=BB17_9 Depth=1
	s_or_b64 exec, exec, s[36:37]
	v_lshl_add_u32 v1, v26, 2, v31
	v_cmp_lt_i32_e32 vcc, v1, v25
	s_and_saveexec_b64 s[36:37], vcc
	s_cbranch_execz .LBB17_305
; %bb.283:                              ;   in Loop: Header=BB17_9 Depth=1
	v_ashrrev_i32_e32 v2, 31, v1
	v_add_co_u32_e32 v10, vcc, v15, v13
	v_lshlrev_b64 v[3:4], 2, v[1:2]
	v_addc_co_u32_e32 v11, vcc, v16, v14, vcc
	v_add_co_u32_e32 v3, vcc, v10, v3
	v_addc_co_u32_e32 v4, vcc, v11, v4, vcc
	v_mov_b32_e32 v10, s70
	v_add_co_u32_e32 v3, vcc, s69, v3
	v_addc_co_u32_e32 v4, vcc, v10, v4, vcc
	v_add_co_u32_e32 v10, vcc, v17, v1
	v_addc_co_u32_e32 v2, vcc, v18, v2, vcc
	;; [unrolled: 2-line block ×3, first 2 shown]
	s_mov_b64 s[38:39], 0
	s_branch .LBB17_285
.LBB17_284:                             ;   in Loop: Header=BB17_285 Depth=2
	s_or_b64 exec, exec, s[2:3]
	v_add_co_u32_e32 v3, vcc, 0x80, v3
	v_add_u32_e32 v1, 32, v1
	v_addc_co_u32_e32 v4, vcc, 0, v4, vcc
	v_cmp_ge_i32_e32 vcc, v1, v25
	global_store_byte v[13:14], v11, off
	s_or_b64 s[38:39], vcc, s[38:39]
	v_add_co_u32_e32 v13, vcc, 32, v13
	v_addc_co_u32_e32 v14, vcc, 0, v14, vcc
	s_andn2_b64 exec, exec, s[38:39]
	s_cbranch_execz .LBB17_305
.LBB17_285:                             ;   Parent Loop BB17_9 Depth=1
                                        ; =>  This Inner Loop Header: Depth=2
	global_load_dword v2, v[3:4], off
	s_waitcnt vmcnt(0)
	v_div_scale_f32 v10, s[2:3], s33, s33, v2
	v_div_scale_f32 v11, vcc, v2, s33, v2
	v_rcp_f32_e32 v15, v10
	v_fma_f32 v16, -v10, v15, 1.0
	v_fmac_f32_e32 v15, v16, v15
	v_mul_f32_e32 v16, v11, v15
	v_fma_f32 v17, -v10, v16, v11
	v_fmac_f32_e32 v16, v17, v15
	v_fma_f32 v10, -v10, v16, v11
	v_div_fmas_f32 v10, v10, v15, v16
	v_div_fixup_f32 v10, v10, s33, v2
	v_and_b32_e32 v11, 0x7f800000, v10
	v_cmp_ne_u64_e32 vcc, s[26:27], v[11:12]
                                        ; implicit-def: $vgpr11
	s_and_saveexec_b64 s[2:3], vcc
	s_xor_b64 s[40:41], exec, s[2:3]
	s_cbranch_execz .LBB17_303
; %bb.286:                              ;   in Loop: Header=BB17_285 Depth=2
	v_and_b32_e32 v11, 0x7fffffff, v10
	v_cmp_gt_u64_e32 vcc, s[28:29], v[11:12]
	v_and_b32_sdwa v2, v10, s71 dst_sel:DWORD dst_unused:UNUSED_PAD src0_sel:BYTE_3 src1_sel:DWORD
                                        ; implicit-def: $vgpr11
	s_and_saveexec_b64 s[2:3], vcc
	s_xor_b64 s[42:43], exec, s[2:3]
	s_cbranch_execz .LBB17_300
; %bb.287:                              ;   in Loop: Header=BB17_285 Depth=2
	v_cmp_ne_u32_e32 vcc, 0, v10
	v_mov_b32_e32 v11, 0
	s_and_saveexec_b64 s[44:45], vcc
	s_cbranch_execz .LBB17_299
; %bb.288:                              ;   in Loop: Header=BB17_285 Depth=2
	v_bfe_u32 v17, v10, 23, 8
	v_and_b32_e32 v11, 0x7fffff, v10
	v_sub_u32_e32 v10, 0x79, v17
	v_cmp_gt_u32_e32 vcc, s72, v17
	v_cndmask_b32_e32 v10, 0, v10, vcc
	v_cmp_eq_u32_e32 vcc, 0, v17
	v_cndmask_b32_e32 v18, v10, v44, vcc
	v_add_u32_e32 v10, 20, v18
	v_or_b32_e32 v19, 0x800000, v11
	v_lshlrev_b64 v[15:16], v10, -1
	v_cndmask_b32_e32 v11, v19, v11, vcc
	v_add_u32_e32 v10, 19, v18
	v_bfi_b32 v15, v15, 0, v11
	v_lshlrev_b64 v[19:20], v10, 1
	v_lshrrev_b64 v[10:11], v18, v[11:12]
	v_bfi_b32 v16, v16, 0, 0
	v_cmp_eq_u64_e64 s[2:3], v[15:16], v[19:20]
	v_mov_b32_e32 v16, v11
	v_mov_b32_e32 v15, v10
	s_and_saveexec_b64 s[46:47], s[2:3]
; %bb.289:                              ;   in Loop: Header=BB17_285 Depth=2
	v_bfe_u32 v11, v10, 20, 1
	v_add_co_u32_e64 v11, s[2:3], v10, v11
	v_add_co_u32_e64 v15, s[2:3], -1, v11
; %bb.290:                              ;   in Loop: Header=BB17_285 Depth=2
	s_or_b64 exec, exec, s[46:47]
	v_add_u32_e32 v11, 0xffffff81, v17
	v_cndmask_b32_e32 v11, v11, v45, vcc
	v_lshrrev_b32_e32 v16, 23, v10
	v_add3_u32 v19, v18, v11, v16
	v_add_u32_e32 v18, 6, v19
	v_and_b32_e32 v11, 0xfffff, v15
	v_add_u32_e32 v11, v11, v10
	v_cmp_ne_u32_e32 vcc, 0, v18
                                        ; implicit-def: $vgpr15_vgpr16
                                        ; implicit-def: $vgpr17
	s_and_saveexec_b64 s[2:3], vcc
	s_xor_b64 s[2:3], exec, s[2:3]
; %bb.291:                              ;   in Loop: Header=BB17_285 Depth=2
	v_cmp_lt_u64_e32 vcc, s[30:31], v[11:12]
	v_add_u32_e32 v10, 7, v19
	v_cndmask_b32_e32 v17, v18, v10, vcc
	v_cndmask_b32_e64 v10, 0, 1, vcc
	v_lshrrev_b64 v[15:16], v10, v[11:12]
; %bb.292:                              ;   in Loop: Header=BB17_285 Depth=2
	s_andn2_saveexec_b64 s[2:3], s[2:3]
; %bb.293:                              ;   in Loop: Header=BB17_285 Depth=2
	v_mov_b32_e32 v16, v12
	v_bfe_u32 v17, v11, 23, 1
	v_mov_b32_e32 v15, v11
; %bb.294:                              ;   in Loop: Header=BB17_285 Depth=2
	s_or_b64 exec, exec, s[2:3]
	v_lshrrev_b64 v[10:11], 20, v[15:16]
	v_cmp_gt_i32_e32 vcc, 16, v17
	v_cndmask_b32_e32 v11, 0, v11, vcc
	v_cndmask_b32_e32 v10, 7, v10, vcc
	v_cmp_ne_u64_e32 vcc, 0, v[10:11]
	v_cmp_ne_u32_e64 s[2:3], 0, v17
	s_or_b64 s[2:3], s[2:3], vcc
                                        ; implicit-def: $vgpr11
	s_and_saveexec_b64 s[46:47], s[2:3]
	s_xor_b64 s[2:3], exec, s[46:47]
; %bb.295:                              ;   in Loop: Header=BB17_285 Depth=2
	v_min_i32_e32 v11, 15, v17
	v_lshl_or_b32 v2, v11, 3, v2
	v_and_or_b32 v11, v10, 7, v2
                                        ; implicit-def: $vgpr2
; %bb.296:                              ;   in Loop: Header=BB17_285 Depth=2
	s_andn2_saveexec_b64 s[2:3], s[2:3]
; %bb.297:                              ;   in Loop: Header=BB17_285 Depth=2
	v_mov_b32_e32 v11, v2
; %bb.298:                              ;   in Loop: Header=BB17_285 Depth=2
	s_or_b64 exec, exec, s[2:3]
.LBB17_299:                             ;   in Loop: Header=BB17_285 Depth=2
	s_or_b64 exec, exec, s[44:45]
                                        ; implicit-def: $vgpr2
.LBB17_300:                             ;   in Loop: Header=BB17_285 Depth=2
	s_andn2_saveexec_b64 s[2:3], s[42:43]
; %bb.301:                              ;   in Loop: Header=BB17_285 Depth=2
	v_or_b32_e32 v11, 0x7e, v2
; %bb.302:                              ;   in Loop: Header=BB17_285 Depth=2
	s_or_b64 exec, exec, s[2:3]
                                        ; implicit-def: $vgpr10
.LBB17_303:                             ;   in Loop: Header=BB17_285 Depth=2
	s_andn2_saveexec_b64 s[2:3], s[40:41]
	s_cbranch_execz .LBB17_284
; %bb.304:                              ;   in Loop: Header=BB17_285 Depth=2
	v_or_b32_sdwa v11, v10, s73 dst_sel:DWORD dst_unused:UNUSED_PAD src0_sel:BYTE_3 src1_sel:DWORD
	s_branch .LBB17_284
.LBB17_305:                             ;   in Loop: Header=BB17_9 Depth=1
	s_or_b64 exec, exec, s[36:37]
                                        ; implicit-def: $vgpr13_vgpr14
.LBB17_306:                             ;   in Loop: Header=BB17_9 Depth=1
	s_andn2_saveexec_b64 s[34:35], s[34:35]
	s_cbranch_execz .LBB17_8
; %bb.307:                              ;   in Loop: Header=BB17_9 Depth=1
	s_and_saveexec_b64 s[36:37], s[0:1]
	s_cbranch_execz .LBB17_7
; %bb.308:                              ;   in Loop: Header=BB17_9 Depth=1
	v_add_co_u32_e32 v13, vcc, v42, v13
	v_mov_b32_e32 v16, v8
	v_addc_co_u32_e32 v14, vcc, v43, v14, vcc
	s_mov_b64 s[38:39], 0
	v_mov_b32_e32 v15, v7
	v_mov_b32_e32 v19, v31
	s_branch .LBB17_310
.LBB17_309:                             ;   in Loop: Header=BB17_310 Depth=2
	s_or_b64 exec, exec, s[2:3]
	v_lshlrev_b32_e32 v1, 24, v1
	v_lshlrev_b32_e32 v2, 16, v18
	v_lshl_or_b32 v3, v10, 8, v17
	v_or3_b32 v1, v3, v2, v1
	global_store_dword v[15:16], v1, off
	v_add_co_u32_e32 v15, vcc, 0x80, v15
	v_add_u32_e32 v19, 32, v19
	v_addc_co_u32_e32 v16, vcc, 0, v16, vcc
	v_add_co_u32_e32 v13, vcc, 0x200, v13
	v_cmp_le_i32_e64 s[2:3], s63, v19
	s_or_b64 s[38:39], s[2:3], s[38:39]
	v_addc_co_u32_e32 v14, vcc, 0, v14, vcc
	s_andn2_b64 exec, exec, s[38:39]
	s_cbranch_execz .LBB17_7
.LBB17_310:                             ;   Parent Loop BB17_9 Depth=1
                                        ; =>  This Inner Loop Header: Depth=2
	global_load_dwordx4 v[1:4], v[13:14], off offset:-8
	s_waitcnt vmcnt(0)
	v_div_scale_f32 v10, s[2:3], s33, s33, v1
	v_div_scale_f32 v11, vcc, v1, s33, v1
	v_rcp_f32_e32 v17, v10
	v_fma_f32 v18, -v10, v17, 1.0
	v_fmac_f32_e32 v17, v18, v17
	v_mul_f32_e32 v18, v11, v17
	v_fma_f32 v20, -v10, v18, v11
	v_fmac_f32_e32 v18, v20, v17
	v_fma_f32 v10, -v10, v18, v11
	v_div_fmas_f32 v10, v10, v17, v18
                                        ; implicit-def: $vgpr17
	v_div_fixup_f32 v10, v10, s33, v1
	v_and_b32_e32 v11, 0x7f800000, v10
	v_cmp_ne_u64_e32 vcc, s[26:27], v[11:12]
	s_and_saveexec_b64 s[2:3], vcc
	s_xor_b64 s[40:41], exec, s[2:3]
	s_cbranch_execz .LBB17_324
; %bb.311:                              ;   in Loop: Header=BB17_310 Depth=2
	v_and_b32_e32 v11, 0x7fffffff, v10
	v_cmp_gt_u64_e32 vcc, s[28:29], v[11:12]
	v_and_b32_sdwa v1, v10, s71 dst_sel:DWORD dst_unused:UNUSED_PAD src0_sel:BYTE_3 src1_sel:DWORD
                                        ; implicit-def: $vgpr17
	s_and_saveexec_b64 s[2:3], vcc
	s_xor_b64 s[42:43], exec, s[2:3]
	s_cbranch_execz .LBB17_321
; %bb.312:                              ;   in Loop: Header=BB17_310 Depth=2
	v_mov_b32_e32 v17, 0
	v_cmp_ne_u32_e32 vcc, 0, v10
	s_and_saveexec_b64 s[44:45], vcc
	s_cbranch_execz .LBB17_320
; %bb.313:                              ;   in Loop: Header=BB17_310 Depth=2
	v_bfe_u32 v20, v10, 23, 8
	v_and_b32_e32 v11, 0x7fffff, v10
	v_sub_u32_e32 v10, 0x79, v20
	v_cmp_gt_u32_e32 vcc, s72, v20
	v_cndmask_b32_e32 v10, 0, v10, vcc
	v_cmp_eq_u32_e32 vcc, 0, v20
	v_cndmask_b32_e32 v21, v10, v44, vcc
	v_add_u32_e32 v10, 20, v21
	v_or_b32_e32 v22, 0x800000, v11
	v_lshlrev_b64 v[17:18], v10, -1
	v_cndmask_b32_e32 v11, v22, v11, vcc
	v_add_u32_e32 v10, 19, v21
	v_bfi_b32 v17, v17, 0, v11
	v_lshlrev_b64 v[22:23], v10, 1
	v_lshrrev_b64 v[10:11], v21, v[11:12]
	v_bfi_b32 v18, v18, 0, 0
	v_cmp_eq_u64_e64 s[2:3], v[17:18], v[22:23]
	v_mov_b32_e32 v18, v11
	v_mov_b32_e32 v17, v10
	s_and_saveexec_b64 s[46:47], s[2:3]
; %bb.314:                              ;   in Loop: Header=BB17_310 Depth=2
	v_bfe_u32 v11, v10, 20, 1
	v_add_co_u32_e64 v11, s[2:3], v10, v11
	v_add_co_u32_e64 v17, s[2:3], -1, v11
; %bb.315:                              ;   in Loop: Header=BB17_310 Depth=2
	s_or_b64 exec, exec, s[46:47]
	v_add_u32_e32 v11, 0xffffff81, v20
	v_cndmask_b32_e32 v11, v11, v45, vcc
	v_lshrrev_b32_e32 v18, 23, v10
	v_add3_u32 v21, v21, v11, v18
	v_add_u32_e32 v20, 6, v21
	v_and_b32_e32 v11, 0xfffff, v17
	v_add_u32_e32 v11, v11, v10
	v_cmp_ne_u32_e32 vcc, 0, v20
                                        ; implicit-def: $vgpr17_vgpr18
                                        ; implicit-def: $vgpr10
	s_and_saveexec_b64 s[2:3], vcc
	s_xor_b64 s[2:3], exec, s[2:3]
; %bb.316:                              ;   in Loop: Header=BB17_310 Depth=2
	v_cmp_lt_u64_e32 vcc, s[30:31], v[11:12]
	v_add_u32_e32 v10, 7, v21
	v_cndmask_b32_e64 v17, 0, 1, vcc
	v_cndmask_b32_e32 v10, v20, v10, vcc
	v_lshrrev_b64 v[17:18], v17, v[11:12]
; %bb.317:                              ;   in Loop: Header=BB17_310 Depth=2
	s_andn2_saveexec_b64 s[2:3], s[2:3]
; %bb.318:                              ;   in Loop: Header=BB17_310 Depth=2
	v_mov_b32_e32 v18, v12
	v_bfe_u32 v10, v11, 23, 1
	v_mov_b32_e32 v17, v11
; %bb.319:                              ;   in Loop: Header=BB17_310 Depth=2
	s_or_b64 exec, exec, s[2:3]
	v_lshrrev_b64 v[17:18], 20, v[17:18]
	v_cmp_gt_i32_e32 vcc, 16, v10
	v_cndmask_b32_e32 v18, 0, v18, vcc
	v_cndmask_b32_e32 v17, 7, v17, vcc
	v_cmp_eq_u32_e32 vcc, 0, v10
	v_min_i32_e32 v10, 15, v10
	v_cmp_eq_u64_e64 s[2:3], 0, v[17:18]
	v_lshlrev_b32_e32 v10, 3, v10
	v_and_b32_e32 v10, 0xf8, v10
	v_and_or_b32 v10, v17, 7, v10
	s_and_b64 s[2:3], vcc, s[2:3]
	v_cndmask_b32_e64 v10, v10, 0, s[2:3]
	v_or_b32_e32 v17, v10, v1
.LBB17_320:                             ;   in Loop: Header=BB17_310 Depth=2
	s_or_b64 exec, exec, s[44:45]
                                        ; implicit-def: $vgpr1
.LBB17_321:                             ;   in Loop: Header=BB17_310 Depth=2
	s_andn2_saveexec_b64 s[2:3], s[42:43]
; %bb.322:                              ;   in Loop: Header=BB17_310 Depth=2
	v_or_b32_e32 v17, 0x7e, v1
; %bb.323:                              ;   in Loop: Header=BB17_310 Depth=2
	s_or_b64 exec, exec, s[2:3]
                                        ; implicit-def: $vgpr10
.LBB17_324:                             ;   in Loop: Header=BB17_310 Depth=2
	s_andn2_saveexec_b64 s[2:3], s[40:41]
; %bb.325:                              ;   in Loop: Header=BB17_310 Depth=2
	v_or_b32_sdwa v17, v10, s73 dst_sel:DWORD dst_unused:UNUSED_PAD src0_sel:BYTE_3 src1_sel:DWORD
; %bb.326:                              ;   in Loop: Header=BB17_310 Depth=2
	s_or_b64 exec, exec, s[2:3]
	v_div_scale_f32 v1, s[2:3], s33, s33, v2
	v_div_scale_f32 v10, vcc, v2, s33, v2
	v_rcp_f32_e32 v11, v1
	v_fma_f32 v18, -v1, v11, 1.0
	v_fmac_f32_e32 v11, v18, v11
	v_mul_f32_e32 v18, v10, v11
	v_fma_f32 v20, -v1, v18, v10
	v_fmac_f32_e32 v18, v20, v11
	v_fma_f32 v1, -v1, v18, v10
	v_div_fmas_f32 v1, v1, v11, v18
                                        ; implicit-def: $vgpr10
	v_div_fixup_f32 v1, v1, s33, v2
	v_and_b32_e32 v11, 0x7f800000, v1
	v_cmp_ne_u64_e32 vcc, s[26:27], v[11:12]
	s_and_saveexec_b64 s[2:3], vcc
	s_xor_b64 s[40:41], exec, s[2:3]
	s_cbranch_execz .LBB17_340
; %bb.327:                              ;   in Loop: Header=BB17_310 Depth=2
	v_and_b32_e32 v11, 0x7fffffff, v1
	v_cmp_gt_u64_e32 vcc, s[28:29], v[11:12]
	v_and_b32_sdwa v18, v1, s71 dst_sel:DWORD dst_unused:UNUSED_PAD src0_sel:BYTE_3 src1_sel:DWORD
                                        ; implicit-def: $vgpr10
	s_and_saveexec_b64 s[2:3], vcc
	s_xor_b64 s[42:43], exec, s[2:3]
	s_cbranch_execz .LBB17_337
; %bb.328:                              ;   in Loop: Header=BB17_310 Depth=2
	v_mov_b32_e32 v10, 0
	v_cmp_ne_u32_e32 vcc, 0, v1
	s_and_saveexec_b64 s[44:45], vcc
	s_cbranch_execz .LBB17_336
; %bb.329:                              ;   in Loop: Header=BB17_310 Depth=2
	v_bfe_u32 v20, v1, 23, 8
	v_and_b32_e32 v10, 0x7fffff, v1
	v_sub_u32_e32 v1, 0x79, v20
	v_cmp_gt_u32_e32 vcc, s72, v20
	v_cndmask_b32_e32 v1, 0, v1, vcc
	v_cmp_eq_u32_e32 vcc, 0, v20
	v_cndmask_b32_e32 v21, v1, v44, vcc
	v_add_u32_e32 v1, 20, v21
	v_or_b32_e32 v11, 0x800000, v10
	v_lshlrev_b64 v[1:2], v1, -1
	v_cndmask_b32_e32 v11, v11, v10, vcc
	v_bfi_b32 v22, v1, 0, v11
	v_add_u32_e32 v1, 19, v21
	v_bfi_b32 v23, v2, 0, 0
	v_lshlrev_b64 v[24:25], v1, 1
	v_lshrrev_b64 v[1:2], v21, v[11:12]
	v_cmp_eq_u64_e64 s[2:3], v[22:23], v[24:25]
	v_mov_b32_e32 v11, v2
	v_mov_b32_e32 v10, v1
	s_and_saveexec_b64 s[46:47], s[2:3]
; %bb.330:                              ;   in Loop: Header=BB17_310 Depth=2
	v_bfe_u32 v2, v1, 20, 1
	v_add_co_u32_e64 v2, s[2:3], v1, v2
	v_add_co_u32_e64 v10, s[2:3], -1, v2
; %bb.331:                              ;   in Loop: Header=BB17_310 Depth=2
	s_or_b64 exec, exec, s[46:47]
	v_add_u32_e32 v2, 0xffffff81, v20
	v_cndmask_b32_e32 v2, v2, v45, vcc
	v_lshrrev_b32_e32 v11, 23, v1
	v_add3_u32 v21, v21, v2, v11
	v_add_u32_e32 v20, 6, v21
	v_and_b32_e32 v2, 0xfffff, v10
	v_add_u32_e32 v11, v2, v1
	v_cmp_ne_u32_e32 vcc, 0, v20
                                        ; implicit-def: $vgpr1_vgpr2
                                        ; implicit-def: $vgpr10
	s_and_saveexec_b64 s[2:3], vcc
	s_xor_b64 s[2:3], exec, s[2:3]
; %bb.332:                              ;   in Loop: Header=BB17_310 Depth=2
	v_cmp_lt_u64_e32 vcc, s[30:31], v[11:12]
	v_add_u32_e32 v1, 7, v21
	v_cndmask_b32_e32 v10, v20, v1, vcc
	v_cndmask_b32_e64 v1, 0, 1, vcc
	v_lshrrev_b64 v[1:2], v1, v[11:12]
; %bb.333:                              ;   in Loop: Header=BB17_310 Depth=2
	s_andn2_saveexec_b64 s[2:3], s[2:3]
; %bb.334:                              ;   in Loop: Header=BB17_310 Depth=2
	v_mov_b32_e32 v1, v11
	v_bfe_u32 v10, v11, 23, 1
	v_mov_b32_e32 v2, v12
; %bb.335:                              ;   in Loop: Header=BB17_310 Depth=2
	s_or_b64 exec, exec, s[2:3]
	v_lshrrev_b64 v[1:2], 20, v[1:2]
	v_cmp_gt_i32_e32 vcc, 16, v10
	v_cndmask_b32_e32 v2, 0, v2, vcc
	v_cndmask_b32_e32 v1, 7, v1, vcc
	v_cmp_eq_u64_e64 s[2:3], 0, v[1:2]
	v_min_i32_e32 v2, 15, v10
	v_lshlrev_b32_e32 v2, 3, v2
	v_cmp_eq_u32_e32 vcc, 0, v10
	v_and_b32_e32 v2, 0xf8, v2
	v_and_or_b32 v1, v1, 7, v2
	s_and_b64 s[2:3], vcc, s[2:3]
	v_cndmask_b32_e64 v1, v1, 0, s[2:3]
	v_or_b32_e32 v10, v1, v18
.LBB17_336:                             ;   in Loop: Header=BB17_310 Depth=2
	s_or_b64 exec, exec, s[44:45]
                                        ; implicit-def: $vgpr18
.LBB17_337:                             ;   in Loop: Header=BB17_310 Depth=2
	s_andn2_saveexec_b64 s[2:3], s[42:43]
; %bb.338:                              ;   in Loop: Header=BB17_310 Depth=2
	v_or_b32_e32 v10, 0x7e, v18
; %bb.339:                              ;   in Loop: Header=BB17_310 Depth=2
	s_or_b64 exec, exec, s[2:3]
                                        ; implicit-def: $vgpr1
.LBB17_340:                             ;   in Loop: Header=BB17_310 Depth=2
	s_andn2_saveexec_b64 s[2:3], s[40:41]
; %bb.341:                              ;   in Loop: Header=BB17_310 Depth=2
	v_or_b32_sdwa v10, v1, s73 dst_sel:DWORD dst_unused:UNUSED_PAD src0_sel:BYTE_3 src1_sel:DWORD
; %bb.342:                              ;   in Loop: Header=BB17_310 Depth=2
	s_or_b64 exec, exec, s[2:3]
	v_div_scale_f32 v1, s[2:3], s33, s33, v3
	v_div_scale_f32 v2, vcc, v3, s33, v3
	v_rcp_f32_e32 v11, v1
	v_fma_f32 v18, -v1, v11, 1.0
	v_fmac_f32_e32 v11, v18, v11
	v_mul_f32_e32 v18, v2, v11
	v_fma_f32 v20, -v1, v18, v2
	v_fmac_f32_e32 v18, v20, v11
	v_fma_f32 v1, -v1, v18, v2
	v_div_fmas_f32 v1, v1, v11, v18
                                        ; implicit-def: $vgpr18
	v_div_fixup_f32 v1, v1, s33, v3
	v_and_b32_e32 v11, 0x7f800000, v1
	v_cmp_ne_u64_e32 vcc, s[26:27], v[11:12]
	s_and_saveexec_b64 s[2:3], vcc
	s_xor_b64 s[40:41], exec, s[2:3]
	s_cbranch_execz .LBB17_356
; %bb.343:                              ;   in Loop: Header=BB17_310 Depth=2
	v_and_b32_e32 v11, 0x7fffffff, v1
	v_cmp_gt_u64_e32 vcc, s[28:29], v[11:12]
	v_and_b32_sdwa v20, v1, s71 dst_sel:DWORD dst_unused:UNUSED_PAD src0_sel:BYTE_3 src1_sel:DWORD
                                        ; implicit-def: $vgpr18
	s_and_saveexec_b64 s[2:3], vcc
	s_xor_b64 s[42:43], exec, s[2:3]
	s_cbranch_execz .LBB17_353
; %bb.344:                              ;   in Loop: Header=BB17_310 Depth=2
	v_mov_b32_e32 v18, 0
	v_cmp_ne_u32_e32 vcc, 0, v1
	s_and_saveexec_b64 s[44:45], vcc
	s_cbranch_execz .LBB17_352
; %bb.345:                              ;   in Loop: Header=BB17_310 Depth=2
	v_bfe_u32 v18, v1, 23, 8
	v_and_b32_e32 v3, 0x7fffff, v1
	v_sub_u32_e32 v1, 0x79, v18
	v_cmp_gt_u32_e32 vcc, s72, v18
	v_cndmask_b32_e32 v1, 0, v1, vcc
	v_cmp_eq_u32_e32 vcc, 0, v18
	v_cndmask_b32_e32 v21, v1, v44, vcc
	v_add_u32_e32 v1, 20, v21
	v_or_b32_e32 v11, 0x800000, v3
	v_lshlrev_b64 v[1:2], v1, -1
	v_cndmask_b32_e32 v11, v11, v3, vcc
	v_bfi_b32 v22, v1, 0, v11
	v_add_u32_e32 v1, 19, v21
	v_bfi_b32 v23, v2, 0, 0
	v_lshlrev_b64 v[24:25], v1, 1
	v_lshrrev_b64 v[1:2], v21, v[11:12]
	v_cmp_eq_u64_e64 s[2:3], v[22:23], v[24:25]
	v_mov_b32_e32 v3, v2
	v_mov_b32_e32 v2, v1
	s_and_saveexec_b64 s[46:47], s[2:3]
; %bb.346:                              ;   in Loop: Header=BB17_310 Depth=2
	v_bfe_u32 v2, v1, 20, 1
	v_add_co_u32_e64 v2, s[2:3], v1, v2
	v_add_co_u32_e64 v2, s[2:3], -1, v2
; %bb.347:                              ;   in Loop: Header=BB17_310 Depth=2
	s_or_b64 exec, exec, s[46:47]
	v_add_u32_e32 v3, 0xffffff81, v18
	v_cndmask_b32_e32 v3, v3, v45, vcc
	v_lshrrev_b32_e32 v11, 23, v1
	v_add3_u32 v21, v21, v3, v11
	v_add_u32_e32 v18, 6, v21
	v_and_b32_e32 v2, 0xfffff, v2
	v_add_u32_e32 v11, v2, v1
	v_cmp_ne_u32_e32 vcc, 0, v18
                                        ; implicit-def: $vgpr1_vgpr2
                                        ; implicit-def: $vgpr3
	s_and_saveexec_b64 s[2:3], vcc
	s_xor_b64 s[2:3], exec, s[2:3]
; %bb.348:                              ;   in Loop: Header=BB17_310 Depth=2
	v_cmp_lt_u64_e32 vcc, s[30:31], v[11:12]
	v_add_u32_e32 v1, 7, v21
	v_cndmask_b32_e32 v3, v18, v1, vcc
	v_cndmask_b32_e64 v1, 0, 1, vcc
	v_lshrrev_b64 v[1:2], v1, v[11:12]
; %bb.349:                              ;   in Loop: Header=BB17_310 Depth=2
	s_andn2_saveexec_b64 s[2:3], s[2:3]
; %bb.350:                              ;   in Loop: Header=BB17_310 Depth=2
	v_mov_b32_e32 v1, v11
	v_bfe_u32 v3, v11, 23, 1
	v_mov_b32_e32 v2, v12
; %bb.351:                              ;   in Loop: Header=BB17_310 Depth=2
	s_or_b64 exec, exec, s[2:3]
	v_lshrrev_b64 v[1:2], 20, v[1:2]
	v_cmp_gt_i32_e32 vcc, 16, v3
	v_cndmask_b32_e32 v2, 0, v2, vcc
	v_cndmask_b32_e32 v1, 7, v1, vcc
	v_cmp_eq_u64_e64 s[2:3], 0, v[1:2]
	v_min_i32_e32 v2, 15, v3
	v_lshlrev_b32_e32 v2, 3, v2
	v_cmp_eq_u32_e32 vcc, 0, v3
	v_and_b32_e32 v2, 0xf8, v2
	v_and_or_b32 v1, v1, 7, v2
	s_and_b64 s[2:3], vcc, s[2:3]
	v_cndmask_b32_e64 v1, v1, 0, s[2:3]
	v_or_b32_e32 v18, v1, v20
.LBB17_352:                             ;   in Loop: Header=BB17_310 Depth=2
	s_or_b64 exec, exec, s[44:45]
                                        ; implicit-def: $vgpr20
.LBB17_353:                             ;   in Loop: Header=BB17_310 Depth=2
	s_andn2_saveexec_b64 s[2:3], s[42:43]
; %bb.354:                              ;   in Loop: Header=BB17_310 Depth=2
	v_or_b32_e32 v18, 0x7e, v20
; %bb.355:                              ;   in Loop: Header=BB17_310 Depth=2
	s_or_b64 exec, exec, s[2:3]
                                        ; implicit-def: $vgpr1
.LBB17_356:                             ;   in Loop: Header=BB17_310 Depth=2
	s_andn2_saveexec_b64 s[2:3], s[40:41]
; %bb.357:                              ;   in Loop: Header=BB17_310 Depth=2
	v_or_b32_sdwa v18, v1, s73 dst_sel:DWORD dst_unused:UNUSED_PAD src0_sel:BYTE_3 src1_sel:DWORD
; %bb.358:                              ;   in Loop: Header=BB17_310 Depth=2
	s_or_b64 exec, exec, s[2:3]
	v_div_scale_f32 v1, s[2:3], s33, s33, v4
	v_div_scale_f32 v2, vcc, v4, s33, v4
	v_rcp_f32_e32 v3, v1
	v_fma_f32 v11, -v1, v3, 1.0
	v_fmac_f32_e32 v3, v11, v3
	v_mul_f32_e32 v11, v2, v3
	v_fma_f32 v20, -v1, v11, v2
	v_fmac_f32_e32 v11, v20, v3
	v_fma_f32 v1, -v1, v11, v2
	v_div_fmas_f32 v1, v1, v3, v11
	v_div_fixup_f32 v2, v1, s33, v4
	v_and_b32_e32 v11, 0x7f800000, v2
	v_cmp_ne_u64_e32 vcc, s[26:27], v[11:12]
                                        ; implicit-def: $vgpr1
	s_and_saveexec_b64 s[2:3], vcc
	s_xor_b64 s[40:41], exec, s[2:3]
	s_cbranch_execz .LBB17_372
; %bb.359:                              ;   in Loop: Header=BB17_310 Depth=2
	v_and_b32_e32 v11, 0x7fffffff, v2
	v_cmp_gt_u64_e32 vcc, s[28:29], v[11:12]
	v_and_b32_sdwa v4, v2, s71 dst_sel:DWORD dst_unused:UNUSED_PAD src0_sel:BYTE_3 src1_sel:DWORD
                                        ; implicit-def: $vgpr1
	s_and_saveexec_b64 s[2:3], vcc
	s_xor_b64 s[42:43], exec, s[2:3]
	s_cbranch_execz .LBB17_369
; %bb.360:                              ;   in Loop: Header=BB17_310 Depth=2
	v_mov_b32_e32 v1, 0
	v_cmp_ne_u32_e32 vcc, 0, v2
	s_and_saveexec_b64 s[44:45], vcc
	s_cbranch_execz .LBB17_368
; %bb.361:                              ;   in Loop: Header=BB17_310 Depth=2
	v_bfe_u32 v20, v2, 23, 8
	v_sub_u32_e32 v1, 0x79, v20
	v_cmp_gt_u32_e32 vcc, s72, v20
	v_cndmask_b32_e32 v1, 0, v1, vcc
	v_cmp_eq_u32_e32 vcc, 0, v20
	v_cndmask_b32_e32 v21, v1, v44, vcc
	v_and_b32_e32 v3, 0x7fffff, v2
	v_add_u32_e32 v1, 20, v21
	v_or_b32_e32 v11, 0x800000, v3
	v_lshlrev_b64 v[1:2], v1, -1
	v_cndmask_b32_e32 v11, v11, v3, vcc
	v_bfi_b32 v22, v1, 0, v11
	v_add_u32_e32 v1, 19, v21
	v_bfi_b32 v23, v2, 0, 0
	v_lshlrev_b64 v[24:25], v1, 1
	v_lshrrev_b64 v[1:2], v21, v[11:12]
	v_cmp_eq_u64_e64 s[2:3], v[22:23], v[24:25]
	v_mov_b32_e32 v3, v2
	v_mov_b32_e32 v2, v1
	s_and_saveexec_b64 s[46:47], s[2:3]
; %bb.362:                              ;   in Loop: Header=BB17_310 Depth=2
	v_bfe_u32 v2, v1, 20, 1
	v_add_co_u32_e64 v2, s[2:3], v1, v2
	v_add_co_u32_e64 v2, s[2:3], -1, v2
; %bb.363:                              ;   in Loop: Header=BB17_310 Depth=2
	s_or_b64 exec, exec, s[46:47]
	v_add_u32_e32 v3, 0xffffff81, v20
	v_cndmask_b32_e32 v3, v3, v45, vcc
	v_lshrrev_b32_e32 v11, 23, v1
	v_add3_u32 v21, v21, v3, v11
	v_add_u32_e32 v20, 6, v21
	v_and_b32_e32 v2, 0xfffff, v2
	v_add_u32_e32 v11, v2, v1
	v_cmp_ne_u32_e32 vcc, 0, v20
                                        ; implicit-def: $vgpr1_vgpr2
                                        ; implicit-def: $vgpr3
	s_and_saveexec_b64 s[2:3], vcc
	s_xor_b64 s[2:3], exec, s[2:3]
; %bb.364:                              ;   in Loop: Header=BB17_310 Depth=2
	v_cmp_lt_u64_e32 vcc, s[30:31], v[11:12]
	v_add_u32_e32 v1, 7, v21
	v_cndmask_b32_e32 v3, v20, v1, vcc
	v_cndmask_b32_e64 v1, 0, 1, vcc
	v_lshrrev_b64 v[1:2], v1, v[11:12]
; %bb.365:                              ;   in Loop: Header=BB17_310 Depth=2
	s_andn2_saveexec_b64 s[2:3], s[2:3]
; %bb.366:                              ;   in Loop: Header=BB17_310 Depth=2
	v_mov_b32_e32 v1, v11
	v_bfe_u32 v3, v11, 23, 1
	v_mov_b32_e32 v2, v12
; %bb.367:                              ;   in Loop: Header=BB17_310 Depth=2
	s_or_b64 exec, exec, s[2:3]
	v_lshrrev_b64 v[1:2], 20, v[1:2]
	v_cmp_gt_i32_e32 vcc, 16, v3
	v_cndmask_b32_e32 v2, 0, v2, vcc
	v_cndmask_b32_e32 v1, 7, v1, vcc
	v_cmp_eq_u64_e64 s[2:3], 0, v[1:2]
	v_min_i32_e32 v2, 15, v3
	v_lshlrev_b32_e32 v2, 3, v2
	v_cmp_eq_u32_e32 vcc, 0, v3
	v_and_b32_e32 v2, 0xf8, v2
	v_and_or_b32 v1, v1, 7, v2
	s_and_b64 s[2:3], vcc, s[2:3]
	v_cndmask_b32_e64 v1, v1, 0, s[2:3]
	v_or_b32_e32 v1, v1, v4
.LBB17_368:                             ;   in Loop: Header=BB17_310 Depth=2
	s_or_b64 exec, exec, s[44:45]
                                        ; implicit-def: $vgpr4
.LBB17_369:                             ;   in Loop: Header=BB17_310 Depth=2
	s_andn2_saveexec_b64 s[2:3], s[42:43]
; %bb.370:                              ;   in Loop: Header=BB17_310 Depth=2
	v_or_b32_e32 v1, 0x7e, v4
; %bb.371:                              ;   in Loop: Header=BB17_310 Depth=2
	s_or_b64 exec, exec, s[2:3]
                                        ; implicit-def: $vgpr2
.LBB17_372:                             ;   in Loop: Header=BB17_310 Depth=2
	s_andn2_saveexec_b64 s[2:3], s[40:41]
	s_cbranch_execz .LBB17_309
; %bb.373:                              ;   in Loop: Header=BB17_310 Depth=2
	v_or_b32_sdwa v1, v2, s73 dst_sel:DWORD dst_unused:UNUSED_PAD src0_sel:BYTE_3 src1_sel:DWORD
	s_branch .LBB17_309
.LBB17_374:
	s_or_b64 exec, exec, s[4:5]
	s_mov_b64 s[0:1], 0
.LBB17_375:
	s_andn2_b64 vcc, exec, s[0:1]
	s_cbranch_vccnz .LBB17_744
; %bb.376:
	s_and_b32 s0, s59, 15
	s_mov_b32 s1, 0
	s_mul_i32 s38, s25, s24
	s_cmp_lg_u64 s[0:1], 0
	s_cselect_b64 s[0:1], -1, 0
	s_and_b32 s4, s38, 3
	s_cmp_eq_u32 s4, 0
	s_cselect_b64 s[2:3], -1, 0
	s_cmp_lg_u32 s4, 0
	s_cselect_b64 s[4:5], -1, 0
	s_or_b64 s[4:5], s[0:1], s[4:5]
	s_mov_b64 s[0:1], -1
	s_and_b64 vcc, exec, s[4:5]
	s_cbranch_vccz .LBB17_492
; %bb.377:
	s_sub_i32 s0, 0, s59
	s_bfe_u32 s0, s0, 0x20002
	s_min_i32 s4, s0, s38
	v_cmp_gt_i32_e32 vcc, s4, v0
	s_and_saveexec_b64 s[16:17], vcc
	s_cbranch_execz .LBB17_401
; %bb.378:
	v_mov_b32_e32 v2, 0
	s_add_u32 s0, s8, s22
	v_mov_b32_e32 v1, v2
	v_lshlrev_b32_e32 v3, 2, v0
	s_addc_u32 s1, s9, s23
	v_mov_b32_e32 v4, s1
	v_add_co_u32_e32 v3, vcc, s0, v3
	v_mov_b32_e32 v6, v1
	v_addc_co_u32_e32 v4, vcc, 0, v4, vcc
	s_lshl_b32 s5, s48, 2
	s_mov_b64 s[18:19], 0
	s_mov_b64 s[20:21], 0x7f800000
	s_movk_i32 s39, 0x80
	s_mov_b64 s[24:25], 0x43e00001
	s_movk_i32 s40, 0x7a
	;; [unrolled: 2-line block ×3, first 2 shown]
	v_mov_b32_e32 v10, 0x78
	v_mov_b32_e32 v11, 0xffffff82
	;; [unrolled: 1-line block ×3, first 2 shown]
	s_branch .LBB17_380
.LBB17_379:                             ;   in Loop: Header=BB17_380 Depth=1
	s_or_b64 exec, exec, s[0:1]
	v_mov_b32_e32 v8, s58
	v_add_co_u32_e32 v7, vcc, s57, v5
	v_addc_co_u32_e32 v8, vcc, v8, v6, vcc
	v_add_co_u32_e32 v5, vcc, s48, v5
	v_addc_co_u32_e32 v6, vcc, 0, v6, vcc
	v_cmp_le_i32_e32 vcc, s4, v5
	s_or_b64 s[18:19], vcc, s[18:19]
	v_add_co_u32_e32 v3, vcc, s5, v3
	v_addc_co_u32_e32 v4, vcc, 0, v4, vcc
	global_store_byte v[7:8], v1, off
	s_andn2_b64 exec, exec, s[18:19]
	s_cbranch_execz .LBB17_401
.LBB17_380:                             ; =>This Inner Loop Header: Depth=1
	global_load_dword v1, v[3:4], off
	s_waitcnt vmcnt(0)
	v_div_scale_f32 v7, s[0:1], s56, s56, v1
	v_div_scale_f32 v8, vcc, v1, s56, v1
	v_rcp_f32_e32 v9, v7
	v_fma_f32 v12, -v7, v9, 1.0
	v_fmac_f32_e32 v9, v12, v9
	v_mul_f32_e32 v12, v8, v9
	v_fma_f32 v13, -v7, v12, v8
	v_fmac_f32_e32 v12, v13, v9
	v_fma_f32 v7, -v7, v12, v8
	v_div_fmas_f32 v7, v7, v9, v12
	v_div_fixup_f32 v7, v7, s56, v1
	v_and_b32_e32 v1, 0x7f800000, v7
	v_cmp_ne_u64_e32 vcc, s[20:21], v[1:2]
                                        ; implicit-def: $vgpr1
	s_and_saveexec_b64 s[0:1], vcc
	s_xor_b64 s[28:29], exec, s[0:1]
	s_cbranch_execz .LBB17_398
; %bb.381:                              ;   in Loop: Header=BB17_380 Depth=1
	v_and_b32_e32 v1, 0x7fffffff, v7
	v_cmp_gt_u64_e32 vcc, s[24:25], v[1:2]
	v_and_b32_sdwa v12, v7, s39 dst_sel:DWORD dst_unused:UNUSED_PAD src0_sel:BYTE_3 src1_sel:DWORD
                                        ; implicit-def: $vgpr1
	s_and_saveexec_b64 s[0:1], vcc
	s_xor_b64 s[30:31], exec, s[0:1]
	s_cbranch_execz .LBB17_395
; %bb.382:                              ;   in Loop: Header=BB17_380 Depth=1
	v_cmp_ne_u32_e32 vcc, 0, v7
	v_mov_b32_e32 v1, 0
	s_and_saveexec_b64 s[34:35], vcc
	s_cbranch_execz .LBB17_394
; %bb.383:                              ;   in Loop: Header=BB17_380 Depth=1
	v_bfe_u32 v13, v7, 23, 8
	v_and_b32_e32 v1, 0x7fffff, v7
	v_sub_u32_e32 v7, 0x79, v13
	v_cmp_gt_u32_e32 vcc, s40, v13
	v_cndmask_b32_e32 v7, 0, v7, vcc
	v_cmp_eq_u32_e32 vcc, 0, v13
	v_cndmask_b32_e32 v14, v7, v10, vcc
	v_add_u32_e32 v7, 20, v14
	v_or_b32_e32 v9, 0x800000, v1
	v_lshlrev_b64 v[7:8], v7, -1
	v_cndmask_b32_e32 v1, v9, v1, vcc
	v_bfi_b32 v15, v7, 0, v1
	v_add_u32_e32 v7, 19, v14
	v_bfi_b32 v16, v8, 0, 0
	v_lshlrev_b64 v[17:18], v7, 1
	v_lshrrev_b64 v[7:8], v14, v[1:2]
	v_cmp_eq_u64_e64 s[0:1], v[15:16], v[17:18]
	v_mov_b32_e32 v9, v8
	v_mov_b32_e32 v8, v7
	s_and_saveexec_b64 s[36:37], s[0:1]
; %bb.384:                              ;   in Loop: Header=BB17_380 Depth=1
	v_bfe_u32 v1, v7, 20, 1
	v_add_co_u32_e64 v1, s[0:1], v7, v1
	v_add_co_u32_e64 v8, s[0:1], -1, v1
; %bb.385:                              ;   in Loop: Header=BB17_380 Depth=1
	s_or_b64 exec, exec, s[36:37]
	v_add_u32_e32 v1, 0xffffff81, v13
	v_cndmask_b32_e32 v1, v1, v11, vcc
	v_lshrrev_b32_e32 v9, 23, v7
	v_add3_u32 v14, v14, v1, v9
	v_add_u32_e32 v13, 6, v14
	v_and_b32_e32 v1, 0xfffff, v8
	v_add_u32_e32 v1, v1, v7
	v_cmp_ne_u32_e32 vcc, 0, v13
                                        ; implicit-def: $vgpr7_vgpr8
                                        ; implicit-def: $vgpr9
	s_and_saveexec_b64 s[0:1], vcc
	s_xor_b64 s[0:1], exec, s[0:1]
; %bb.386:                              ;   in Loop: Header=BB17_380 Depth=1
	v_cmp_lt_u64_e32 vcc, s[26:27], v[1:2]
	v_add_u32_e32 v7, 7, v14
	v_cndmask_b32_e32 v9, v13, v7, vcc
	v_cndmask_b32_e64 v7, 0, 1, vcc
	v_lshrrev_b64 v[7:8], v7, v[1:2]
; %bb.387:                              ;   in Loop: Header=BB17_380 Depth=1
	s_andn2_saveexec_b64 s[0:1], s[0:1]
; %bb.388:                              ;   in Loop: Header=BB17_380 Depth=1
	v_mov_b32_e32 v8, v2
	v_bfe_u32 v9, v1, 23, 1
	v_mov_b32_e32 v7, v1
; %bb.389:                              ;   in Loop: Header=BB17_380 Depth=1
	s_or_b64 exec, exec, s[0:1]
	v_lshrrev_b64 v[7:8], 20, v[7:8]
	v_cmp_gt_i32_e32 vcc, 16, v9
	v_cndmask_b32_e32 v8, 0, v8, vcc
	v_cndmask_b32_e32 v7, 7, v7, vcc
	v_cmp_ne_u64_e32 vcc, 0, v[7:8]
	v_cmp_ne_u32_e64 s[0:1], 0, v9
	s_or_b64 s[0:1], s[0:1], vcc
                                        ; implicit-def: $vgpr1
	s_and_saveexec_b64 s[36:37], s[0:1]
	s_xor_b64 s[0:1], exec, s[36:37]
; %bb.390:                              ;   in Loop: Header=BB17_380 Depth=1
	v_min_i32_e32 v1, 15, v9
	v_lshl_or_b32 v1, v1, 3, v12
	v_and_or_b32 v1, v7, 7, v1
                                        ; implicit-def: $vgpr12
; %bb.391:                              ;   in Loop: Header=BB17_380 Depth=1
	s_andn2_saveexec_b64 s[0:1], s[0:1]
; %bb.392:                              ;   in Loop: Header=BB17_380 Depth=1
	v_mov_b32_e32 v1, v12
; %bb.393:                              ;   in Loop: Header=BB17_380 Depth=1
	s_or_b64 exec, exec, s[0:1]
.LBB17_394:                             ;   in Loop: Header=BB17_380 Depth=1
	s_or_b64 exec, exec, s[34:35]
                                        ; implicit-def: $vgpr12
.LBB17_395:                             ;   in Loop: Header=BB17_380 Depth=1
	s_andn2_saveexec_b64 s[0:1], s[30:31]
; %bb.396:                              ;   in Loop: Header=BB17_380 Depth=1
	v_or_b32_e32 v1, 0x7e, v12
; %bb.397:                              ;   in Loop: Header=BB17_380 Depth=1
	s_or_b64 exec, exec, s[0:1]
                                        ; implicit-def: $vgpr7
.LBB17_398:                             ;   in Loop: Header=BB17_380 Depth=1
	s_andn2_saveexec_b64 s[0:1], s[28:29]
	s_cbranch_execz .LBB17_379
; %bb.399:                              ;   in Loop: Header=BB17_380 Depth=1
	v_or_b32_sdwa v1, v7, s41 dst_sel:DWORD dst_unused:UNUSED_PAD src0_sel:BYTE_3 src1_sel:DWORD
	s_branch .LBB17_379
.LBB17_400:
                                        ; implicit-def: $sgpr30_sgpr31
	s_branch .LBB17_3
.LBB17_401:
	s_or_b64 exec, exec, s[16:17]
	s_sub_i32 s39, s38, s4
	s_ashr_i32 s0, s39, 31
	s_lshr_b32 s0, s0, 30
	s_add_i32 s0, s39, s0
	s_ashr_i32 s40, s0, 2
	s_ashr_i32 s5, s4, 31
	v_cmp_gt_i32_e32 vcc, s40, v0
	s_and_saveexec_b64 s[16:17], vcc
	s_cbranch_execz .LBB17_468
; %bb.402:
	s_add_u32 s0, s4, s50
	s_addc_u32 s1, s5, s49
	s_add_u32 s0, s0, s52
	s_addc_u32 s1, s1, s51
	s_add_u32 s0, s12, s0
	v_lshlrev_b32_e32 v1, 2, v0
	s_addc_u32 s1, s13, s1
	v_mov_b32_e32 v2, s1
	v_add_co_u32_e32 v7, vcc, s0, v1
	s_lshl_b32 s41, s48, 2
	s_lshl_b64 s[0:1], s[4:5], 2
	s_add_u32 s0, s8, s0
	s_addc_u32 s1, s9, s1
	s_add_u32 s0, s0, s22
	v_addc_co_u32_e32 v8, vcc, 0, v2, vcc
	v_lshlrev_b32_e32 v1, 4, v0
	s_addc_u32 s1, s1, s23
	v_mov_b32_e32 v2, s1
	v_add_co_u32_e32 v1, vcc, s0, v1
	v_addc_co_u32_e32 v2, vcc, 0, v2, vcc
	v_add_co_u32_e32 v9, vcc, 8, v1
	v_mov_b32_e32 v6, 0
	v_addc_co_u32_e32 v10, vcc, 0, v2, vcc
	s_lshl_b32 s42, s48, 4
	s_mov_b64 s[18:19], 0
	s_mov_b64 s[20:21], 0x7f800000
	s_movk_i32 s43, 0x80
	s_mov_b64 s[24:25], 0x43e00001
	s_movk_i32 s44, 0x7a
	;; [unrolled: 2-line block ×3, first 2 shown]
	v_mov_b32_e32 v14, 0x78
	v_mov_b32_e32 v15, 0xffffff82
	;; [unrolled: 1-line block ×3, first 2 shown]
	s_branch .LBB17_404
.LBB17_403:                             ;   in Loop: Header=BB17_404 Depth=1
	s_or_b64 exec, exec, s[0:1]
	v_lshlrev_b32_e32 v1, 24, v1
	v_lshlrev_b32_e32 v2, 16, v12
	v_lshl_or_b32 v3, v11, 8, v13
	v_or3_b32 v1, v3, v2, v1
	global_store_dword v[7:8], v1, off
	v_add_co_u32_e32 v7, vcc, s41, v7
	v_add_u32_e32 v16, s48, v16
	v_addc_co_u32_e32 v8, vcc, 0, v8, vcc
	v_cmp_le_i32_e32 vcc, s40, v16
	s_or_b64 s[18:19], vcc, s[18:19]
	v_add_co_u32_e32 v9, vcc, s42, v9
	v_addc_co_u32_e32 v10, vcc, 0, v10, vcc
	s_andn2_b64 exec, exec, s[18:19]
	s_cbranch_execz .LBB17_468
.LBB17_404:                             ; =>This Inner Loop Header: Depth=1
	global_load_dwordx4 v[1:4], v[9:10], off offset:-8
	s_waitcnt vmcnt(0)
	v_div_scale_f32 v5, s[0:1], s56, s56, v1
	v_div_scale_f32 v11, vcc, v1, s56, v1
	v_rcp_f32_e32 v12, v5
	v_fma_f32 v13, -v5, v12, 1.0
	v_fmac_f32_e32 v12, v13, v12
	v_mul_f32_e32 v13, v11, v12
	v_fma_f32 v17, -v5, v13, v11
	v_fmac_f32_e32 v13, v17, v12
	v_fma_f32 v5, -v5, v13, v11
	v_div_fmas_f32 v5, v5, v12, v13
                                        ; implicit-def: $vgpr13
	v_div_fixup_f32 v11, v5, s56, v1
	v_and_b32_e32 v5, 0x7f800000, v11
	v_cmp_ne_u64_e32 vcc, s[20:21], v[5:6]
	s_and_saveexec_b64 s[0:1], vcc
	s_xor_b64 s[28:29], exec, s[0:1]
	s_cbranch_execz .LBB17_418
; %bb.405:                              ;   in Loop: Header=BB17_404 Depth=1
	v_and_b32_e32 v5, 0x7fffffff, v11
	v_cmp_gt_u64_e32 vcc, s[24:25], v[5:6]
	v_and_b32_sdwa v1, v11, s43 dst_sel:DWORD dst_unused:UNUSED_PAD src0_sel:BYTE_3 src1_sel:DWORD
                                        ; implicit-def: $vgpr13
	s_and_saveexec_b64 s[0:1], vcc
	s_xor_b64 s[30:31], exec, s[0:1]
	s_cbranch_execz .LBB17_415
; %bb.406:                              ;   in Loop: Header=BB17_404 Depth=1
	v_mov_b32_e32 v13, 0
	v_cmp_ne_u32_e32 vcc, 0, v11
	s_and_saveexec_b64 s[34:35], vcc
	s_cbranch_execz .LBB17_414
; %bb.407:                              ;   in Loop: Header=BB17_404 Depth=1
	v_bfe_u32 v17, v11, 23, 8
	v_and_b32_e32 v5, 0x7fffff, v11
	v_sub_u32_e32 v11, 0x79, v17
	v_cmp_gt_u32_e32 vcc, s44, v17
	v_cndmask_b32_e32 v11, 0, v11, vcc
	v_cmp_eq_u32_e32 vcc, 0, v17
	v_cndmask_b32_e32 v18, v11, v14, vcc
	v_add_u32_e32 v11, 20, v18
	v_or_b32_e32 v13, 0x800000, v5
	v_lshlrev_b64 v[11:12], v11, -1
	v_cndmask_b32_e32 v5, v13, v5, vcc
	v_bfi_b32 v19, v11, 0, v5
	v_add_u32_e32 v11, 19, v18
	v_bfi_b32 v20, v12, 0, 0
	v_lshlrev_b64 v[21:22], v11, 1
	v_lshrrev_b64 v[11:12], v18, v[5:6]
	v_cmp_eq_u64_e64 s[0:1], v[19:20], v[21:22]
	v_mov_b32_e32 v13, v12
	v_mov_b32_e32 v12, v11
	s_and_saveexec_b64 s[36:37], s[0:1]
; %bb.408:                              ;   in Loop: Header=BB17_404 Depth=1
	v_bfe_u32 v5, v11, 20, 1
	v_add_co_u32_e64 v5, s[0:1], v11, v5
	v_add_co_u32_e64 v12, s[0:1], -1, v5
; %bb.409:                              ;   in Loop: Header=BB17_404 Depth=1
	s_or_b64 exec, exec, s[36:37]
	v_add_u32_e32 v5, 0xffffff81, v17
	v_cndmask_b32_e32 v5, v5, v15, vcc
	v_lshrrev_b32_e32 v13, 23, v11
	v_add3_u32 v18, v18, v5, v13
	v_add_u32_e32 v17, 6, v18
	v_and_b32_e32 v5, 0xfffff, v12
	v_add_u32_e32 v5, v5, v11
	v_cmp_ne_u32_e32 vcc, 0, v17
                                        ; implicit-def: $vgpr11_vgpr12
                                        ; implicit-def: $vgpr13
	s_and_saveexec_b64 s[0:1], vcc
	s_xor_b64 s[0:1], exec, s[0:1]
; %bb.410:                              ;   in Loop: Header=BB17_404 Depth=1
	v_cmp_lt_u64_e32 vcc, s[26:27], v[5:6]
	v_add_u32_e32 v11, 7, v18
	v_cndmask_b32_e32 v13, v17, v11, vcc
	v_cndmask_b32_e64 v11, 0, 1, vcc
	v_lshrrev_b64 v[11:12], v11, v[5:6]
; %bb.411:                              ;   in Loop: Header=BB17_404 Depth=1
	s_andn2_saveexec_b64 s[0:1], s[0:1]
; %bb.412:                              ;   in Loop: Header=BB17_404 Depth=1
	v_mov_b32_e32 v12, v6
	v_bfe_u32 v13, v5, 23, 1
	v_mov_b32_e32 v11, v5
; %bb.413:                              ;   in Loop: Header=BB17_404 Depth=1
	s_or_b64 exec, exec, s[0:1]
	v_lshrrev_b64 v[11:12], 20, v[11:12]
	v_cmp_gt_i32_e32 vcc, 16, v13
	v_cndmask_b32_e32 v12, 0, v12, vcc
	v_cndmask_b32_e32 v11, 7, v11, vcc
	v_min_i32_e32 v5, 15, v13
	v_cmp_eq_u64_e64 s[0:1], 0, v[11:12]
	v_lshlrev_b32_e32 v5, 3, v5
	v_cmp_eq_u32_e32 vcc, 0, v13
	v_and_b32_e32 v5, 0xf8, v5
	v_and_or_b32 v5, v11, 7, v5
	s_and_b64 s[0:1], vcc, s[0:1]
	v_cndmask_b32_e64 v5, v5, 0, s[0:1]
	v_or_b32_e32 v13, v5, v1
.LBB17_414:                             ;   in Loop: Header=BB17_404 Depth=1
	s_or_b64 exec, exec, s[34:35]
                                        ; implicit-def: $vgpr1
.LBB17_415:                             ;   in Loop: Header=BB17_404 Depth=1
	s_andn2_saveexec_b64 s[0:1], s[30:31]
; %bb.416:                              ;   in Loop: Header=BB17_404 Depth=1
	v_or_b32_e32 v13, 0x7e, v1
; %bb.417:                              ;   in Loop: Header=BB17_404 Depth=1
	s_or_b64 exec, exec, s[0:1]
                                        ; implicit-def: $vgpr11
.LBB17_418:                             ;   in Loop: Header=BB17_404 Depth=1
	s_andn2_saveexec_b64 s[0:1], s[28:29]
; %bb.419:                              ;   in Loop: Header=BB17_404 Depth=1
	v_or_b32_sdwa v13, v11, s45 dst_sel:DWORD dst_unused:UNUSED_PAD src0_sel:BYTE_3 src1_sel:DWORD
; %bb.420:                              ;   in Loop: Header=BB17_404 Depth=1
	s_or_b64 exec, exec, s[0:1]
	v_div_scale_f32 v1, s[0:1], s56, s56, v2
	v_div_scale_f32 v5, vcc, v2, s56, v2
	v_rcp_f32_e32 v11, v1
	v_fma_f32 v12, -v1, v11, 1.0
	v_fmac_f32_e32 v11, v12, v11
	v_mul_f32_e32 v12, v5, v11
	v_fma_f32 v17, -v1, v12, v5
	v_fmac_f32_e32 v12, v17, v11
	v_fma_f32 v1, -v1, v12, v5
	v_div_fmas_f32 v1, v1, v11, v12
                                        ; implicit-def: $vgpr11
	v_div_fixup_f32 v1, v1, s56, v2
	v_and_b32_e32 v5, 0x7f800000, v1
	v_cmp_ne_u64_e32 vcc, s[20:21], v[5:6]
	s_and_saveexec_b64 s[0:1], vcc
	s_xor_b64 s[28:29], exec, s[0:1]
	s_cbranch_execz .LBB17_434
; %bb.421:                              ;   in Loop: Header=BB17_404 Depth=1
	v_and_b32_e32 v5, 0x7fffffff, v1
	v_cmp_gt_u64_e32 vcc, s[24:25], v[5:6]
	v_and_b32_sdwa v17, v1, s43 dst_sel:DWORD dst_unused:UNUSED_PAD src0_sel:BYTE_3 src1_sel:DWORD
                                        ; implicit-def: $vgpr11
	s_and_saveexec_b64 s[0:1], vcc
	s_xor_b64 s[30:31], exec, s[0:1]
	s_cbranch_execz .LBB17_431
; %bb.422:                              ;   in Loop: Header=BB17_404 Depth=1
	v_mov_b32_e32 v11, 0
	v_cmp_ne_u32_e32 vcc, 0, v1
	s_and_saveexec_b64 s[34:35], vcc
	s_cbranch_execz .LBB17_430
; %bb.423:                              ;   in Loop: Header=BB17_404 Depth=1
	v_bfe_u32 v18, v1, 23, 8
	v_and_b32_e32 v5, 0x7fffff, v1
	v_sub_u32_e32 v1, 0x79, v18
	v_cmp_gt_u32_e32 vcc, s44, v18
	v_cndmask_b32_e32 v1, 0, v1, vcc
	v_cmp_eq_u32_e32 vcc, 0, v18
	v_cndmask_b32_e32 v19, v1, v14, vcc
	v_add_u32_e32 v1, 20, v19
	v_or_b32_e32 v11, 0x800000, v5
	v_lshlrev_b64 v[1:2], v1, -1
	v_cndmask_b32_e32 v5, v11, v5, vcc
	v_bfi_b32 v11, v1, 0, v5
	v_add_u32_e32 v1, 19, v19
	v_bfi_b32 v12, v2, 0, 0
	v_lshlrev_b64 v[20:21], v1, 1
	v_lshrrev_b64 v[1:2], v19, v[5:6]
	v_cmp_eq_u64_e64 s[0:1], v[11:12], v[20:21]
	v_mov_b32_e32 v12, v2
	v_mov_b32_e32 v11, v1
	s_and_saveexec_b64 s[36:37], s[0:1]
; %bb.424:                              ;   in Loop: Header=BB17_404 Depth=1
	v_bfe_u32 v2, v1, 20, 1
	v_add_co_u32_e64 v2, s[0:1], v1, v2
	v_add_co_u32_e64 v11, s[0:1], -1, v2
; %bb.425:                              ;   in Loop: Header=BB17_404 Depth=1
	s_or_b64 exec, exec, s[36:37]
	v_add_u32_e32 v2, 0xffffff81, v18
	v_cndmask_b32_e32 v2, v2, v15, vcc
	v_lshrrev_b32_e32 v5, 23, v1
	v_add3_u32 v18, v19, v2, v5
	v_add_u32_e32 v12, 6, v18
	v_and_b32_e32 v2, 0xfffff, v11
	v_add_u32_e32 v5, v2, v1
	v_cmp_ne_u32_e32 vcc, 0, v12
                                        ; implicit-def: $vgpr1_vgpr2
                                        ; implicit-def: $vgpr11
	s_and_saveexec_b64 s[0:1], vcc
	s_xor_b64 s[0:1], exec, s[0:1]
; %bb.426:                              ;   in Loop: Header=BB17_404 Depth=1
	v_cmp_lt_u64_e32 vcc, s[26:27], v[5:6]
	v_add_u32_e32 v1, 7, v18
	v_cndmask_b32_e32 v11, v12, v1, vcc
	v_cndmask_b32_e64 v1, 0, 1, vcc
	v_lshrrev_b64 v[1:2], v1, v[5:6]
; %bb.427:                              ;   in Loop: Header=BB17_404 Depth=1
	s_andn2_saveexec_b64 s[0:1], s[0:1]
; %bb.428:                              ;   in Loop: Header=BB17_404 Depth=1
	v_mov_b32_e32 v1, v5
	v_bfe_u32 v11, v5, 23, 1
	v_mov_b32_e32 v2, v6
; %bb.429:                              ;   in Loop: Header=BB17_404 Depth=1
	s_or_b64 exec, exec, s[0:1]
	v_lshrrev_b64 v[1:2], 20, v[1:2]
	v_cmp_gt_i32_e32 vcc, 16, v11
	v_cndmask_b32_e32 v2, 0, v2, vcc
	v_cndmask_b32_e32 v1, 7, v1, vcc
	v_cmp_eq_u64_e64 s[0:1], 0, v[1:2]
	v_min_i32_e32 v2, 15, v11
	v_lshlrev_b32_e32 v2, 3, v2
	v_cmp_eq_u32_e32 vcc, 0, v11
	v_and_b32_e32 v2, 0xf8, v2
	v_and_or_b32 v1, v1, 7, v2
	s_and_b64 s[0:1], vcc, s[0:1]
	v_cndmask_b32_e64 v1, v1, 0, s[0:1]
	v_or_b32_e32 v11, v1, v17
.LBB17_430:                             ;   in Loop: Header=BB17_404 Depth=1
	s_or_b64 exec, exec, s[34:35]
                                        ; implicit-def: $vgpr17
.LBB17_431:                             ;   in Loop: Header=BB17_404 Depth=1
	s_andn2_saveexec_b64 s[0:1], s[30:31]
; %bb.432:                              ;   in Loop: Header=BB17_404 Depth=1
	v_or_b32_e32 v11, 0x7e, v17
; %bb.433:                              ;   in Loop: Header=BB17_404 Depth=1
	s_or_b64 exec, exec, s[0:1]
                                        ; implicit-def: $vgpr1
.LBB17_434:                             ;   in Loop: Header=BB17_404 Depth=1
	s_andn2_saveexec_b64 s[0:1], s[28:29]
; %bb.435:                              ;   in Loop: Header=BB17_404 Depth=1
	v_or_b32_sdwa v11, v1, s45 dst_sel:DWORD dst_unused:UNUSED_PAD src0_sel:BYTE_3 src1_sel:DWORD
; %bb.436:                              ;   in Loop: Header=BB17_404 Depth=1
	s_or_b64 exec, exec, s[0:1]
	v_div_scale_f32 v1, s[0:1], s56, s56, v3
	v_div_scale_f32 v2, vcc, v3, s56, v3
	v_rcp_f32_e32 v5, v1
	v_fma_f32 v12, -v1, v5, 1.0
	v_fmac_f32_e32 v5, v12, v5
	v_mul_f32_e32 v12, v2, v5
	v_fma_f32 v17, -v1, v12, v2
	v_fmac_f32_e32 v12, v17, v5
	v_fma_f32 v1, -v1, v12, v2
	v_div_fmas_f32 v1, v1, v5, v12
                                        ; implicit-def: $vgpr12
	v_div_fixup_f32 v1, v1, s56, v3
	v_and_b32_e32 v5, 0x7f800000, v1
	v_cmp_ne_u64_e32 vcc, s[20:21], v[5:6]
	s_and_saveexec_b64 s[0:1], vcc
	s_xor_b64 s[28:29], exec, s[0:1]
	s_cbranch_execz .LBB17_450
; %bb.437:                              ;   in Loop: Header=BB17_404 Depth=1
	v_and_b32_e32 v5, 0x7fffffff, v1
	v_cmp_gt_u64_e32 vcc, s[24:25], v[5:6]
	v_and_b32_sdwa v17, v1, s43 dst_sel:DWORD dst_unused:UNUSED_PAD src0_sel:BYTE_3 src1_sel:DWORD
                                        ; implicit-def: $vgpr12
	s_and_saveexec_b64 s[0:1], vcc
	s_xor_b64 s[30:31], exec, s[0:1]
	s_cbranch_execz .LBB17_447
; %bb.438:                              ;   in Loop: Header=BB17_404 Depth=1
	v_mov_b32_e32 v12, 0
	v_cmp_ne_u32_e32 vcc, 0, v1
	s_and_saveexec_b64 s[34:35], vcc
	s_cbranch_execz .LBB17_446
; %bb.439:                              ;   in Loop: Header=BB17_404 Depth=1
	v_bfe_u32 v12, v1, 23, 8
	v_and_b32_e32 v3, 0x7fffff, v1
	v_sub_u32_e32 v1, 0x79, v12
	v_cmp_gt_u32_e32 vcc, s44, v12
	v_cndmask_b32_e32 v1, 0, v1, vcc
	v_cmp_eq_u32_e32 vcc, 0, v12
	v_cndmask_b32_e32 v18, v1, v14, vcc
	v_add_u32_e32 v1, 20, v18
	v_or_b32_e32 v5, 0x800000, v3
	v_lshlrev_b64 v[1:2], v1, -1
	v_cndmask_b32_e32 v5, v5, v3, vcc
	v_bfi_b32 v19, v1, 0, v5
	v_add_u32_e32 v1, 19, v18
	v_bfi_b32 v20, v2, 0, 0
	v_lshlrev_b64 v[21:22], v1, 1
	v_lshrrev_b64 v[1:2], v18, v[5:6]
	v_cmp_eq_u64_e64 s[0:1], v[19:20], v[21:22]
	v_mov_b32_e32 v3, v2
	v_mov_b32_e32 v2, v1
	s_and_saveexec_b64 s[36:37], s[0:1]
; %bb.440:                              ;   in Loop: Header=BB17_404 Depth=1
	v_bfe_u32 v2, v1, 20, 1
	v_add_co_u32_e64 v2, s[0:1], v1, v2
	v_add_co_u32_e64 v2, s[0:1], -1, v2
; %bb.441:                              ;   in Loop: Header=BB17_404 Depth=1
	s_or_b64 exec, exec, s[36:37]
	v_add_u32_e32 v3, 0xffffff81, v12
	v_cndmask_b32_e32 v3, v3, v15, vcc
	v_lshrrev_b32_e32 v5, 23, v1
	v_add3_u32 v18, v18, v3, v5
	v_add_u32_e32 v12, 6, v18
	v_and_b32_e32 v2, 0xfffff, v2
	v_add_u32_e32 v5, v2, v1
	v_cmp_ne_u32_e32 vcc, 0, v12
                                        ; implicit-def: $vgpr1_vgpr2
                                        ; implicit-def: $vgpr3
	s_and_saveexec_b64 s[0:1], vcc
	s_xor_b64 s[0:1], exec, s[0:1]
; %bb.442:                              ;   in Loop: Header=BB17_404 Depth=1
	v_cmp_lt_u64_e32 vcc, s[26:27], v[5:6]
	v_add_u32_e32 v1, 7, v18
	v_cndmask_b32_e32 v3, v12, v1, vcc
	v_cndmask_b32_e64 v1, 0, 1, vcc
	v_lshrrev_b64 v[1:2], v1, v[5:6]
; %bb.443:                              ;   in Loop: Header=BB17_404 Depth=1
	s_andn2_saveexec_b64 s[0:1], s[0:1]
; %bb.444:                              ;   in Loop: Header=BB17_404 Depth=1
	v_mov_b32_e32 v1, v5
	v_bfe_u32 v3, v5, 23, 1
	v_mov_b32_e32 v2, v6
; %bb.445:                              ;   in Loop: Header=BB17_404 Depth=1
	s_or_b64 exec, exec, s[0:1]
	v_lshrrev_b64 v[1:2], 20, v[1:2]
	v_cmp_gt_i32_e32 vcc, 16, v3
	v_cndmask_b32_e32 v2, 0, v2, vcc
	v_cndmask_b32_e32 v1, 7, v1, vcc
	v_cmp_eq_u64_e64 s[0:1], 0, v[1:2]
	v_min_i32_e32 v2, 15, v3
	v_lshlrev_b32_e32 v2, 3, v2
	v_cmp_eq_u32_e32 vcc, 0, v3
	v_and_b32_e32 v2, 0xf8, v2
	v_and_or_b32 v1, v1, 7, v2
	s_and_b64 s[0:1], vcc, s[0:1]
	v_cndmask_b32_e64 v1, v1, 0, s[0:1]
	v_or_b32_e32 v12, v1, v17
.LBB17_446:                             ;   in Loop: Header=BB17_404 Depth=1
	s_or_b64 exec, exec, s[34:35]
                                        ; implicit-def: $vgpr17
.LBB17_447:                             ;   in Loop: Header=BB17_404 Depth=1
	s_andn2_saveexec_b64 s[0:1], s[30:31]
; %bb.448:                              ;   in Loop: Header=BB17_404 Depth=1
	v_or_b32_e32 v12, 0x7e, v17
; %bb.449:                              ;   in Loop: Header=BB17_404 Depth=1
	s_or_b64 exec, exec, s[0:1]
                                        ; implicit-def: $vgpr1
.LBB17_450:                             ;   in Loop: Header=BB17_404 Depth=1
	s_andn2_saveexec_b64 s[0:1], s[28:29]
; %bb.451:                              ;   in Loop: Header=BB17_404 Depth=1
	v_or_b32_sdwa v12, v1, s45 dst_sel:DWORD dst_unused:UNUSED_PAD src0_sel:BYTE_3 src1_sel:DWORD
; %bb.452:                              ;   in Loop: Header=BB17_404 Depth=1
	s_or_b64 exec, exec, s[0:1]
	v_div_scale_f32 v1, s[0:1], s56, s56, v4
	v_div_scale_f32 v2, vcc, v4, s56, v4
	v_rcp_f32_e32 v3, v1
	v_fma_f32 v5, -v1, v3, 1.0
	v_fmac_f32_e32 v3, v5, v3
	v_mul_f32_e32 v5, v2, v3
	v_fma_f32 v17, -v1, v5, v2
	v_fmac_f32_e32 v5, v17, v3
	v_fma_f32 v1, -v1, v5, v2
	v_div_fmas_f32 v1, v1, v3, v5
	v_div_fixup_f32 v2, v1, s56, v4
	v_and_b32_e32 v5, 0x7f800000, v2
	v_cmp_ne_u64_e32 vcc, s[20:21], v[5:6]
                                        ; implicit-def: $vgpr1
	s_and_saveexec_b64 s[0:1], vcc
	s_xor_b64 s[28:29], exec, s[0:1]
	s_cbranch_execz .LBB17_466
; %bb.453:                              ;   in Loop: Header=BB17_404 Depth=1
	v_and_b32_e32 v5, 0x7fffffff, v2
	v_cmp_gt_u64_e32 vcc, s[24:25], v[5:6]
	v_and_b32_sdwa v4, v2, s43 dst_sel:DWORD dst_unused:UNUSED_PAD src0_sel:BYTE_3 src1_sel:DWORD
                                        ; implicit-def: $vgpr1
	s_and_saveexec_b64 s[0:1], vcc
	s_xor_b64 s[30:31], exec, s[0:1]
	s_cbranch_execz .LBB17_463
; %bb.454:                              ;   in Loop: Header=BB17_404 Depth=1
	v_mov_b32_e32 v1, 0
	v_cmp_ne_u32_e32 vcc, 0, v2
	s_and_saveexec_b64 s[34:35], vcc
	s_cbranch_execz .LBB17_462
; %bb.455:                              ;   in Loop: Header=BB17_404 Depth=1
	v_bfe_u32 v17, v2, 23, 8
	v_sub_u32_e32 v1, 0x79, v17
	v_cmp_gt_u32_e32 vcc, s44, v17
	v_cndmask_b32_e32 v1, 0, v1, vcc
	v_cmp_eq_u32_e32 vcc, 0, v17
	v_cndmask_b32_e32 v18, v1, v14, vcc
	v_and_b32_e32 v3, 0x7fffff, v2
	v_add_u32_e32 v1, 20, v18
	v_or_b32_e32 v5, 0x800000, v3
	v_lshlrev_b64 v[1:2], v1, -1
	v_cndmask_b32_e32 v5, v5, v3, vcc
	v_bfi_b32 v19, v1, 0, v5
	v_add_u32_e32 v1, 19, v18
	v_bfi_b32 v20, v2, 0, 0
	v_lshlrev_b64 v[21:22], v1, 1
	v_lshrrev_b64 v[1:2], v18, v[5:6]
	v_cmp_eq_u64_e64 s[0:1], v[19:20], v[21:22]
	v_mov_b32_e32 v3, v2
	v_mov_b32_e32 v2, v1
	s_and_saveexec_b64 s[36:37], s[0:1]
; %bb.456:                              ;   in Loop: Header=BB17_404 Depth=1
	v_bfe_u32 v2, v1, 20, 1
	v_add_co_u32_e64 v2, s[0:1], v1, v2
	v_add_co_u32_e64 v2, s[0:1], -1, v2
; %bb.457:                              ;   in Loop: Header=BB17_404 Depth=1
	s_or_b64 exec, exec, s[36:37]
	v_add_u32_e32 v3, 0xffffff81, v17
	v_cndmask_b32_e32 v3, v3, v15, vcc
	v_lshrrev_b32_e32 v5, 23, v1
	v_add3_u32 v18, v18, v3, v5
	v_add_u32_e32 v17, 6, v18
	v_and_b32_e32 v2, 0xfffff, v2
	v_add_u32_e32 v5, v2, v1
	v_cmp_ne_u32_e32 vcc, 0, v17
                                        ; implicit-def: $vgpr1_vgpr2
                                        ; implicit-def: $vgpr3
	s_and_saveexec_b64 s[0:1], vcc
	s_xor_b64 s[0:1], exec, s[0:1]
; %bb.458:                              ;   in Loop: Header=BB17_404 Depth=1
	v_cmp_lt_u64_e32 vcc, s[26:27], v[5:6]
	v_add_u32_e32 v1, 7, v18
	v_cndmask_b32_e32 v3, v17, v1, vcc
	v_cndmask_b32_e64 v1, 0, 1, vcc
	v_lshrrev_b64 v[1:2], v1, v[5:6]
; %bb.459:                              ;   in Loop: Header=BB17_404 Depth=1
	s_andn2_saveexec_b64 s[0:1], s[0:1]
; %bb.460:                              ;   in Loop: Header=BB17_404 Depth=1
	v_mov_b32_e32 v1, v5
	v_bfe_u32 v3, v5, 23, 1
	v_mov_b32_e32 v2, v6
; %bb.461:                              ;   in Loop: Header=BB17_404 Depth=1
	s_or_b64 exec, exec, s[0:1]
	v_lshrrev_b64 v[1:2], 20, v[1:2]
	v_cmp_gt_i32_e32 vcc, 16, v3
	v_cndmask_b32_e32 v2, 0, v2, vcc
	v_cndmask_b32_e32 v1, 7, v1, vcc
	v_cmp_eq_u64_e64 s[0:1], 0, v[1:2]
	v_min_i32_e32 v2, 15, v3
	v_lshlrev_b32_e32 v2, 3, v2
	v_cmp_eq_u32_e32 vcc, 0, v3
	v_and_b32_e32 v2, 0xf8, v2
	v_and_or_b32 v1, v1, 7, v2
	s_and_b64 s[0:1], vcc, s[0:1]
	v_cndmask_b32_e64 v1, v1, 0, s[0:1]
	v_or_b32_e32 v1, v1, v4
.LBB17_462:                             ;   in Loop: Header=BB17_404 Depth=1
	s_or_b64 exec, exec, s[34:35]
                                        ; implicit-def: $vgpr4
.LBB17_463:                             ;   in Loop: Header=BB17_404 Depth=1
	s_andn2_saveexec_b64 s[0:1], s[30:31]
; %bb.464:                              ;   in Loop: Header=BB17_404 Depth=1
	v_or_b32_e32 v1, 0x7e, v4
; %bb.465:                              ;   in Loop: Header=BB17_404 Depth=1
	s_or_b64 exec, exec, s[0:1]
                                        ; implicit-def: $vgpr2
.LBB17_466:                             ;   in Loop: Header=BB17_404 Depth=1
	s_andn2_saveexec_b64 s[0:1], s[28:29]
	s_cbranch_execz .LBB17_403
; %bb.467:                              ;   in Loop: Header=BB17_404 Depth=1
	v_or_b32_sdwa v1, v2, s45 dst_sel:DWORD dst_unused:UNUSED_PAD src0_sel:BYTE_3 src1_sel:DWORD
	s_branch .LBB17_403
.LBB17_468:
	s_or_b64 exec, exec, s[16:17]
	v_lshl_add_u32 v1, s40, 2, v0
	v_cmp_gt_i32_e32 vcc, s39, v1
	s_and_saveexec_b64 s[16:17], vcc
	s_cbranch_execz .LBB17_491
; %bb.469:
	s_lshl_b64 s[0:1], s[4:5], 2
	s_add_u32 s0, s22, s0
	s_addc_u32 s1, s23, s1
	v_ashrrev_i32_e32 v2, 31, v1
	v_lshlrev_b64 v[4:5], 2, v[1:2]
	s_add_u32 s0, s8, s0
	s_addc_u32 s1, s9, s1
	s_lshl_b32 s40, s48, 2
	v_add_co_u32_e32 v4, vcc, s0, v4
	s_add_u32 s0, s4, s50
	v_mov_b32_e32 v6, s1
	s_addc_u32 s1, s5, s49
	s_add_u32 s0, s0, s52
	s_addc_u32 s1, s1, s51
	s_add_u32 s0, s12, s0
	v_addc_co_u32_e32 v5, vcc, v6, v5, vcc
	s_addc_u32 s1, s13, s1
	v_mov_b32_e32 v6, s1
	v_add_co_u32_e32 v9, vcc, s0, v1
	v_mov_b32_e32 v3, 0
	v_addc_co_u32_e32 v10, vcc, v6, v2, vcc
	s_mov_b64 s[4:5], 0
	s_mov_b64 s[18:19], 0x7f800000
	s_movk_i32 s41, 0x80
	s_mov_b64 s[20:21], 0x43e00001
	s_movk_i32 s42, 0x7a
	;; [unrolled: 2-line block ×3, first 2 shown]
	v_mov_b32_e32 v11, 0x78
	v_mov_b32_e32 v12, 0xffffff82
	s_mov_b64 s[26:27], 0
	s_branch .LBB17_471
.LBB17_470:                             ;   in Loop: Header=BB17_471 Depth=1
	s_or_b64 exec, exec, s[0:1]
	v_mov_b32_e32 v7, s27
	v_add_co_u32_e32 v6, vcc, s26, v9
	v_addc_co_u32_e32 v7, vcc, v10, v7, vcc
	s_add_u32 s26, s26, s48
	global_store_byte v[6:7], v2, off
	v_add_u32_e32 v2, s26, v1
	s_addc_u32 s27, s27, 0
	v_cmp_le_i32_e32 vcc, s39, v2
	s_or_b64 s[4:5], vcc, s[4:5]
	v_add_co_u32_e32 v4, vcc, s40, v4
	v_addc_co_u32_e32 v5, vcc, 0, v5, vcc
	s_andn2_b64 exec, exec, s[4:5]
	s_cbranch_execz .LBB17_491
.LBB17_471:                             ; =>This Inner Loop Header: Depth=1
	global_load_dword v2, v[4:5], off
	s_waitcnt vmcnt(0)
	v_div_scale_f32 v6, s[0:1], s56, s56, v2
	v_div_scale_f32 v7, vcc, v2, s56, v2
	v_rcp_f32_e32 v8, v6
	v_fma_f32 v13, -v6, v8, 1.0
	v_fmac_f32_e32 v8, v13, v8
	v_mul_f32_e32 v13, v7, v8
	v_fma_f32 v14, -v6, v13, v7
	v_fmac_f32_e32 v13, v14, v8
	v_fma_f32 v6, -v6, v13, v7
	v_div_fmas_f32 v6, v6, v8, v13
	v_div_fixup_f32 v6, v6, s56, v2
	v_and_b32_e32 v2, 0x7f800000, v6
	v_cmp_ne_u64_e32 vcc, s[18:19], v[2:3]
                                        ; implicit-def: $vgpr2
	s_and_saveexec_b64 s[0:1], vcc
	s_xor_b64 s[28:29], exec, s[0:1]
	s_cbranch_execz .LBB17_489
; %bb.472:                              ;   in Loop: Header=BB17_471 Depth=1
	v_and_b32_e32 v2, 0x7fffffff, v6
	v_cmp_gt_u64_e32 vcc, s[20:21], v[2:3]
	v_and_b32_sdwa v13, v6, s41 dst_sel:DWORD dst_unused:UNUSED_PAD src0_sel:BYTE_3 src1_sel:DWORD
                                        ; implicit-def: $vgpr2
	s_and_saveexec_b64 s[0:1], vcc
	s_xor_b64 s[30:31], exec, s[0:1]
	s_cbranch_execz .LBB17_486
; %bb.473:                              ;   in Loop: Header=BB17_471 Depth=1
	v_cmp_ne_u32_e32 vcc, 0, v6
	v_mov_b32_e32 v2, 0
	s_and_saveexec_b64 s[34:35], vcc
	s_cbranch_execz .LBB17_485
; %bb.474:                              ;   in Loop: Header=BB17_471 Depth=1
	v_bfe_u32 v14, v6, 23, 8
	v_and_b32_e32 v2, 0x7fffff, v6
	v_sub_u32_e32 v6, 0x79, v14
	v_cmp_gt_u32_e32 vcc, s42, v14
	v_cndmask_b32_e32 v6, 0, v6, vcc
	v_cmp_eq_u32_e32 vcc, 0, v14
	v_cndmask_b32_e32 v15, v6, v11, vcc
	v_add_u32_e32 v6, 20, v15
	v_or_b32_e32 v8, 0x800000, v2
	v_lshlrev_b64 v[6:7], v6, -1
	v_cndmask_b32_e32 v2, v8, v2, vcc
	v_bfi_b32 v16, v6, 0, v2
	v_add_u32_e32 v6, 19, v15
	v_bfi_b32 v17, v7, 0, 0
	v_lshlrev_b64 v[18:19], v6, 1
	v_lshrrev_b64 v[6:7], v15, v[2:3]
	v_cmp_eq_u64_e64 s[0:1], v[16:17], v[18:19]
	v_mov_b32_e32 v8, v7
	v_mov_b32_e32 v7, v6
	s_and_saveexec_b64 s[36:37], s[0:1]
; %bb.475:                              ;   in Loop: Header=BB17_471 Depth=1
	v_bfe_u32 v2, v6, 20, 1
	v_add_co_u32_e64 v2, s[0:1], v6, v2
	v_add_co_u32_e64 v7, s[0:1], -1, v2
; %bb.476:                              ;   in Loop: Header=BB17_471 Depth=1
	s_or_b64 exec, exec, s[36:37]
	v_add_u32_e32 v2, 0xffffff81, v14
	v_cndmask_b32_e32 v2, v2, v12, vcc
	v_lshrrev_b32_e32 v8, 23, v6
	v_add3_u32 v15, v15, v2, v8
	v_add_u32_e32 v14, 6, v15
	v_and_b32_e32 v2, 0xfffff, v7
	v_add_u32_e32 v2, v2, v6
	v_cmp_ne_u32_e32 vcc, 0, v14
                                        ; implicit-def: $vgpr6_vgpr7
                                        ; implicit-def: $vgpr8
	s_and_saveexec_b64 s[0:1], vcc
	s_xor_b64 s[0:1], exec, s[0:1]
; %bb.477:                              ;   in Loop: Header=BB17_471 Depth=1
	v_cmp_lt_u64_e32 vcc, s[24:25], v[2:3]
	v_add_u32_e32 v6, 7, v15
	v_cndmask_b32_e32 v8, v14, v6, vcc
	v_cndmask_b32_e64 v6, 0, 1, vcc
	v_lshrrev_b64 v[6:7], v6, v[2:3]
; %bb.478:                              ;   in Loop: Header=BB17_471 Depth=1
	s_andn2_saveexec_b64 s[0:1], s[0:1]
; %bb.479:                              ;   in Loop: Header=BB17_471 Depth=1
	v_mov_b32_e32 v7, v3
	v_bfe_u32 v8, v2, 23, 1
	v_mov_b32_e32 v6, v2
; %bb.480:                              ;   in Loop: Header=BB17_471 Depth=1
	s_or_b64 exec, exec, s[0:1]
	v_lshrrev_b64 v[6:7], 20, v[6:7]
	v_cmp_gt_i32_e32 vcc, 16, v8
	v_cndmask_b32_e32 v7, 0, v7, vcc
	v_cndmask_b32_e32 v6, 7, v6, vcc
	v_cmp_ne_u64_e32 vcc, 0, v[6:7]
	v_cmp_ne_u32_e64 s[0:1], 0, v8
	s_or_b64 s[0:1], s[0:1], vcc
                                        ; implicit-def: $vgpr2
	s_and_saveexec_b64 s[36:37], s[0:1]
	s_xor_b64 s[0:1], exec, s[36:37]
; %bb.481:                              ;   in Loop: Header=BB17_471 Depth=1
	v_min_i32_e32 v2, 15, v8
	v_lshl_or_b32 v2, v2, 3, v13
	v_and_or_b32 v2, v6, 7, v2
                                        ; implicit-def: $vgpr13
; %bb.482:                              ;   in Loop: Header=BB17_471 Depth=1
	s_andn2_saveexec_b64 s[0:1], s[0:1]
; %bb.483:                              ;   in Loop: Header=BB17_471 Depth=1
	v_mov_b32_e32 v2, v13
; %bb.484:                              ;   in Loop: Header=BB17_471 Depth=1
	s_or_b64 exec, exec, s[0:1]
.LBB17_485:                             ;   in Loop: Header=BB17_471 Depth=1
	s_or_b64 exec, exec, s[34:35]
                                        ; implicit-def: $vgpr13
.LBB17_486:                             ;   in Loop: Header=BB17_471 Depth=1
	s_andn2_saveexec_b64 s[0:1], s[30:31]
; %bb.487:                              ;   in Loop: Header=BB17_471 Depth=1
	v_or_b32_e32 v2, 0x7e, v13
; %bb.488:                              ;   in Loop: Header=BB17_471 Depth=1
	s_or_b64 exec, exec, s[0:1]
                                        ; implicit-def: $vgpr6
.LBB17_489:                             ;   in Loop: Header=BB17_471 Depth=1
	s_andn2_saveexec_b64 s[0:1], s[28:29]
	s_cbranch_execz .LBB17_470
; %bb.490:                              ;   in Loop: Header=BB17_471 Depth=1
	v_or_b32_sdwa v2, v6, s43 dst_sel:DWORD dst_unused:UNUSED_PAD src0_sel:BYTE_3 src1_sel:DWORD
	s_branch .LBB17_470
.LBB17_491:
	s_or_b64 exec, exec, s[16:17]
	s_mov_b64 s[0:1], 0
.LBB17_492:
	s_and_b64 vcc, exec, s[0:1]
	s_cbranch_vccz .LBB17_561
; %bb.493:
	s_ashr_i32 s28, s38, 2
	v_cmp_gt_i32_e32 vcc, s28, v0
	s_and_saveexec_b64 s[4:5], vcc
	s_cbranch_execz .LBB17_560
; %bb.494:
	s_add_u32 s0, s50, s52
	s_addc_u32 s1, s49, s51
	s_add_u32 s0, s12, s0
	v_lshlrev_b32_e32 v1, 2, v0
	s_addc_u32 s1, s13, s1
	s_lshl_b32 s29, s48, 2
	v_mov_b32_e32 v2, s1
	v_add_co_u32_e32 v7, vcc, s0, v1
	s_add_u32 s0, s8, s22
	v_addc_co_u32_e32 v8, vcc, 0, v2, vcc
	v_lshlrev_b32_e32 v1, 4, v0
	s_addc_u32 s1, s9, s23
	v_mov_b32_e32 v2, s1
	v_add_co_u32_e32 v1, vcc, s0, v1
	v_addc_co_u32_e32 v2, vcc, 0, v2, vcc
	v_add_co_u32_e32 v9, vcc, 8, v1
	v_mov_b32_e32 v6, 0
	v_addc_co_u32_e32 v10, vcc, 0, v2, vcc
	s_lshl_b32 s30, s48, 4
	s_mov_b64 s[8:9], 0
	s_mov_b64 s[12:13], 0x7f800000
	s_movk_i32 s31, 0x80
	s_mov_b64 s[16:17], 0x43e00001
	s_movk_i32 s34, 0x7a
	;; [unrolled: 2-line block ×3, first 2 shown]
	v_mov_b32_e32 v14, 0x78
	v_mov_b32_e32 v15, 0xffffff82
	;; [unrolled: 1-line block ×3, first 2 shown]
	s_branch .LBB17_496
.LBB17_495:                             ;   in Loop: Header=BB17_496 Depth=1
	s_or_b64 exec, exec, s[0:1]
	v_lshlrev_b32_e32 v1, 24, v1
	v_lshlrev_b32_e32 v2, 16, v12
	v_lshl_or_b32 v3, v11, 8, v13
	v_or3_b32 v1, v3, v2, v1
	global_store_dword v[7:8], v1, off
	v_add_co_u32_e32 v7, vcc, s29, v7
	v_add_u32_e32 v16, s48, v16
	v_addc_co_u32_e32 v8, vcc, 0, v8, vcc
	v_cmp_le_i32_e32 vcc, s28, v16
	s_or_b64 s[8:9], vcc, s[8:9]
	v_add_co_u32_e32 v9, vcc, s30, v9
	v_addc_co_u32_e32 v10, vcc, 0, v10, vcc
	s_andn2_b64 exec, exec, s[8:9]
	s_cbranch_execz .LBB17_560
.LBB17_496:                             ; =>This Inner Loop Header: Depth=1
	global_load_dwordx4 v[1:4], v[9:10], off offset:-8
	s_waitcnt vmcnt(0)
	v_div_scale_f32 v5, s[0:1], s56, s56, v1
	v_div_scale_f32 v11, vcc, v1, s56, v1
	v_rcp_f32_e32 v12, v5
	v_fma_f32 v13, -v5, v12, 1.0
	v_fmac_f32_e32 v12, v13, v12
	v_mul_f32_e32 v13, v11, v12
	v_fma_f32 v17, -v5, v13, v11
	v_fmac_f32_e32 v13, v17, v12
	v_fma_f32 v5, -v5, v13, v11
	v_div_fmas_f32 v5, v5, v12, v13
                                        ; implicit-def: $vgpr13
	v_div_fixup_f32 v11, v5, s56, v1
	v_and_b32_e32 v5, 0x7f800000, v11
	v_cmp_ne_u64_e32 vcc, s[12:13], v[5:6]
	s_and_saveexec_b64 s[0:1], vcc
	s_xor_b64 s[20:21], exec, s[0:1]
	s_cbranch_execz .LBB17_510
; %bb.497:                              ;   in Loop: Header=BB17_496 Depth=1
	v_and_b32_e32 v5, 0x7fffffff, v11
	v_cmp_gt_u64_e32 vcc, s[16:17], v[5:6]
	v_and_b32_sdwa v1, v11, s31 dst_sel:DWORD dst_unused:UNUSED_PAD src0_sel:BYTE_3 src1_sel:DWORD
                                        ; implicit-def: $vgpr13
	s_and_saveexec_b64 s[0:1], vcc
	s_xor_b64 s[22:23], exec, s[0:1]
	s_cbranch_execz .LBB17_507
; %bb.498:                              ;   in Loop: Header=BB17_496 Depth=1
	v_mov_b32_e32 v13, 0
	v_cmp_ne_u32_e32 vcc, 0, v11
	s_and_saveexec_b64 s[24:25], vcc
	s_cbranch_execz .LBB17_506
; %bb.499:                              ;   in Loop: Header=BB17_496 Depth=1
	v_bfe_u32 v17, v11, 23, 8
	v_and_b32_e32 v5, 0x7fffff, v11
	v_sub_u32_e32 v11, 0x79, v17
	v_cmp_gt_u32_e32 vcc, s34, v17
	v_cndmask_b32_e32 v11, 0, v11, vcc
	v_cmp_eq_u32_e32 vcc, 0, v17
	v_cndmask_b32_e32 v18, v11, v14, vcc
	v_add_u32_e32 v11, 20, v18
	v_or_b32_e32 v13, 0x800000, v5
	v_lshlrev_b64 v[11:12], v11, -1
	v_cndmask_b32_e32 v5, v13, v5, vcc
	v_bfi_b32 v19, v11, 0, v5
	v_add_u32_e32 v11, 19, v18
	v_bfi_b32 v20, v12, 0, 0
	v_lshlrev_b64 v[21:22], v11, 1
	v_lshrrev_b64 v[11:12], v18, v[5:6]
	v_cmp_eq_u64_e64 s[0:1], v[19:20], v[21:22]
	v_mov_b32_e32 v13, v12
	v_mov_b32_e32 v12, v11
	s_and_saveexec_b64 s[26:27], s[0:1]
; %bb.500:                              ;   in Loop: Header=BB17_496 Depth=1
	v_bfe_u32 v5, v11, 20, 1
	v_add_co_u32_e64 v5, s[0:1], v11, v5
	v_add_co_u32_e64 v12, s[0:1], -1, v5
; %bb.501:                              ;   in Loop: Header=BB17_496 Depth=1
	s_or_b64 exec, exec, s[26:27]
	v_add_u32_e32 v5, 0xffffff81, v17
	v_cndmask_b32_e32 v5, v5, v15, vcc
	v_lshrrev_b32_e32 v13, 23, v11
	v_add3_u32 v18, v18, v5, v13
	v_add_u32_e32 v17, 6, v18
	v_and_b32_e32 v5, 0xfffff, v12
	v_add_u32_e32 v5, v5, v11
	v_cmp_ne_u32_e32 vcc, 0, v17
                                        ; implicit-def: $vgpr11_vgpr12
                                        ; implicit-def: $vgpr13
	s_and_saveexec_b64 s[0:1], vcc
	s_xor_b64 s[0:1], exec, s[0:1]
; %bb.502:                              ;   in Loop: Header=BB17_496 Depth=1
	v_cmp_lt_u64_e32 vcc, s[18:19], v[5:6]
	v_add_u32_e32 v11, 7, v18
	v_cndmask_b32_e32 v13, v17, v11, vcc
	v_cndmask_b32_e64 v11, 0, 1, vcc
	v_lshrrev_b64 v[11:12], v11, v[5:6]
; %bb.503:                              ;   in Loop: Header=BB17_496 Depth=1
	s_andn2_saveexec_b64 s[0:1], s[0:1]
; %bb.504:                              ;   in Loop: Header=BB17_496 Depth=1
	v_mov_b32_e32 v12, v6
	v_bfe_u32 v13, v5, 23, 1
	v_mov_b32_e32 v11, v5
; %bb.505:                              ;   in Loop: Header=BB17_496 Depth=1
	s_or_b64 exec, exec, s[0:1]
	v_lshrrev_b64 v[11:12], 20, v[11:12]
	v_cmp_gt_i32_e32 vcc, 16, v13
	v_cndmask_b32_e32 v12, 0, v12, vcc
	v_cndmask_b32_e32 v11, 7, v11, vcc
	v_min_i32_e32 v5, 15, v13
	v_cmp_eq_u64_e64 s[0:1], 0, v[11:12]
	v_lshlrev_b32_e32 v5, 3, v5
	v_cmp_eq_u32_e32 vcc, 0, v13
	v_and_b32_e32 v5, 0xf8, v5
	v_and_or_b32 v5, v11, 7, v5
	s_and_b64 s[0:1], vcc, s[0:1]
	v_cndmask_b32_e64 v5, v5, 0, s[0:1]
	v_or_b32_e32 v13, v5, v1
.LBB17_506:                             ;   in Loop: Header=BB17_496 Depth=1
	s_or_b64 exec, exec, s[24:25]
                                        ; implicit-def: $vgpr1
.LBB17_507:                             ;   in Loop: Header=BB17_496 Depth=1
	s_andn2_saveexec_b64 s[0:1], s[22:23]
; %bb.508:                              ;   in Loop: Header=BB17_496 Depth=1
	v_or_b32_e32 v13, 0x7e, v1
; %bb.509:                              ;   in Loop: Header=BB17_496 Depth=1
	s_or_b64 exec, exec, s[0:1]
                                        ; implicit-def: $vgpr11
.LBB17_510:                             ;   in Loop: Header=BB17_496 Depth=1
	s_andn2_saveexec_b64 s[0:1], s[20:21]
; %bb.511:                              ;   in Loop: Header=BB17_496 Depth=1
	v_or_b32_sdwa v13, v11, s35 dst_sel:DWORD dst_unused:UNUSED_PAD src0_sel:BYTE_3 src1_sel:DWORD
; %bb.512:                              ;   in Loop: Header=BB17_496 Depth=1
	s_or_b64 exec, exec, s[0:1]
	v_div_scale_f32 v1, s[0:1], s56, s56, v2
	v_div_scale_f32 v5, vcc, v2, s56, v2
	v_rcp_f32_e32 v11, v1
	v_fma_f32 v12, -v1, v11, 1.0
	v_fmac_f32_e32 v11, v12, v11
	v_mul_f32_e32 v12, v5, v11
	v_fma_f32 v17, -v1, v12, v5
	v_fmac_f32_e32 v12, v17, v11
	v_fma_f32 v1, -v1, v12, v5
	v_div_fmas_f32 v1, v1, v11, v12
                                        ; implicit-def: $vgpr11
	v_div_fixup_f32 v1, v1, s56, v2
	v_and_b32_e32 v5, 0x7f800000, v1
	v_cmp_ne_u64_e32 vcc, s[12:13], v[5:6]
	s_and_saveexec_b64 s[0:1], vcc
	s_xor_b64 s[20:21], exec, s[0:1]
	s_cbranch_execz .LBB17_526
; %bb.513:                              ;   in Loop: Header=BB17_496 Depth=1
	v_and_b32_e32 v5, 0x7fffffff, v1
	v_cmp_gt_u64_e32 vcc, s[16:17], v[5:6]
	v_and_b32_sdwa v17, v1, s31 dst_sel:DWORD dst_unused:UNUSED_PAD src0_sel:BYTE_3 src1_sel:DWORD
                                        ; implicit-def: $vgpr11
	s_and_saveexec_b64 s[0:1], vcc
	s_xor_b64 s[22:23], exec, s[0:1]
	s_cbranch_execz .LBB17_523
; %bb.514:                              ;   in Loop: Header=BB17_496 Depth=1
	v_mov_b32_e32 v11, 0
	v_cmp_ne_u32_e32 vcc, 0, v1
	s_and_saveexec_b64 s[24:25], vcc
	s_cbranch_execz .LBB17_522
; %bb.515:                              ;   in Loop: Header=BB17_496 Depth=1
	v_bfe_u32 v18, v1, 23, 8
	v_and_b32_e32 v5, 0x7fffff, v1
	v_sub_u32_e32 v1, 0x79, v18
	v_cmp_gt_u32_e32 vcc, s34, v18
	v_cndmask_b32_e32 v1, 0, v1, vcc
	v_cmp_eq_u32_e32 vcc, 0, v18
	v_cndmask_b32_e32 v19, v1, v14, vcc
	v_add_u32_e32 v1, 20, v19
	v_or_b32_e32 v11, 0x800000, v5
	v_lshlrev_b64 v[1:2], v1, -1
	v_cndmask_b32_e32 v5, v11, v5, vcc
	v_bfi_b32 v11, v1, 0, v5
	v_add_u32_e32 v1, 19, v19
	v_bfi_b32 v12, v2, 0, 0
	v_lshlrev_b64 v[20:21], v1, 1
	v_lshrrev_b64 v[1:2], v19, v[5:6]
	v_cmp_eq_u64_e64 s[0:1], v[11:12], v[20:21]
	v_mov_b32_e32 v12, v2
	v_mov_b32_e32 v11, v1
	s_and_saveexec_b64 s[26:27], s[0:1]
; %bb.516:                              ;   in Loop: Header=BB17_496 Depth=1
	v_bfe_u32 v2, v1, 20, 1
	v_add_co_u32_e64 v2, s[0:1], v1, v2
	v_add_co_u32_e64 v11, s[0:1], -1, v2
; %bb.517:                              ;   in Loop: Header=BB17_496 Depth=1
	s_or_b64 exec, exec, s[26:27]
	v_add_u32_e32 v2, 0xffffff81, v18
	v_cndmask_b32_e32 v2, v2, v15, vcc
	v_lshrrev_b32_e32 v5, 23, v1
	v_add3_u32 v18, v19, v2, v5
	v_add_u32_e32 v12, 6, v18
	v_and_b32_e32 v2, 0xfffff, v11
	v_add_u32_e32 v5, v2, v1
	v_cmp_ne_u32_e32 vcc, 0, v12
                                        ; implicit-def: $vgpr1_vgpr2
                                        ; implicit-def: $vgpr11
	s_and_saveexec_b64 s[0:1], vcc
	s_xor_b64 s[0:1], exec, s[0:1]
; %bb.518:                              ;   in Loop: Header=BB17_496 Depth=1
	v_cmp_lt_u64_e32 vcc, s[18:19], v[5:6]
	v_add_u32_e32 v1, 7, v18
	v_cndmask_b32_e32 v11, v12, v1, vcc
	v_cndmask_b32_e64 v1, 0, 1, vcc
	v_lshrrev_b64 v[1:2], v1, v[5:6]
; %bb.519:                              ;   in Loop: Header=BB17_496 Depth=1
	s_andn2_saveexec_b64 s[0:1], s[0:1]
; %bb.520:                              ;   in Loop: Header=BB17_496 Depth=1
	v_mov_b32_e32 v1, v5
	v_bfe_u32 v11, v5, 23, 1
	v_mov_b32_e32 v2, v6
; %bb.521:                              ;   in Loop: Header=BB17_496 Depth=1
	s_or_b64 exec, exec, s[0:1]
	v_lshrrev_b64 v[1:2], 20, v[1:2]
	v_cmp_gt_i32_e32 vcc, 16, v11
	v_cndmask_b32_e32 v2, 0, v2, vcc
	v_cndmask_b32_e32 v1, 7, v1, vcc
	v_cmp_eq_u64_e64 s[0:1], 0, v[1:2]
	v_min_i32_e32 v2, 15, v11
	v_lshlrev_b32_e32 v2, 3, v2
	v_cmp_eq_u32_e32 vcc, 0, v11
	v_and_b32_e32 v2, 0xf8, v2
	v_and_or_b32 v1, v1, 7, v2
	s_and_b64 s[0:1], vcc, s[0:1]
	v_cndmask_b32_e64 v1, v1, 0, s[0:1]
	v_or_b32_e32 v11, v1, v17
.LBB17_522:                             ;   in Loop: Header=BB17_496 Depth=1
	s_or_b64 exec, exec, s[24:25]
                                        ; implicit-def: $vgpr17
.LBB17_523:                             ;   in Loop: Header=BB17_496 Depth=1
	s_andn2_saveexec_b64 s[0:1], s[22:23]
; %bb.524:                              ;   in Loop: Header=BB17_496 Depth=1
	v_or_b32_e32 v11, 0x7e, v17
; %bb.525:                              ;   in Loop: Header=BB17_496 Depth=1
	s_or_b64 exec, exec, s[0:1]
                                        ; implicit-def: $vgpr1
.LBB17_526:                             ;   in Loop: Header=BB17_496 Depth=1
	s_andn2_saveexec_b64 s[0:1], s[20:21]
; %bb.527:                              ;   in Loop: Header=BB17_496 Depth=1
	v_or_b32_sdwa v11, v1, s35 dst_sel:DWORD dst_unused:UNUSED_PAD src0_sel:BYTE_3 src1_sel:DWORD
; %bb.528:                              ;   in Loop: Header=BB17_496 Depth=1
	s_or_b64 exec, exec, s[0:1]
	v_div_scale_f32 v1, s[0:1], s56, s56, v3
	v_div_scale_f32 v2, vcc, v3, s56, v3
	v_rcp_f32_e32 v5, v1
	v_fma_f32 v12, -v1, v5, 1.0
	v_fmac_f32_e32 v5, v12, v5
	v_mul_f32_e32 v12, v2, v5
	v_fma_f32 v17, -v1, v12, v2
	v_fmac_f32_e32 v12, v17, v5
	v_fma_f32 v1, -v1, v12, v2
	v_div_fmas_f32 v1, v1, v5, v12
                                        ; implicit-def: $vgpr12
	v_div_fixup_f32 v1, v1, s56, v3
	v_and_b32_e32 v5, 0x7f800000, v1
	v_cmp_ne_u64_e32 vcc, s[12:13], v[5:6]
	s_and_saveexec_b64 s[0:1], vcc
	s_xor_b64 s[20:21], exec, s[0:1]
	s_cbranch_execz .LBB17_542
; %bb.529:                              ;   in Loop: Header=BB17_496 Depth=1
	v_and_b32_e32 v5, 0x7fffffff, v1
	v_cmp_gt_u64_e32 vcc, s[16:17], v[5:6]
	v_and_b32_sdwa v17, v1, s31 dst_sel:DWORD dst_unused:UNUSED_PAD src0_sel:BYTE_3 src1_sel:DWORD
                                        ; implicit-def: $vgpr12
	s_and_saveexec_b64 s[0:1], vcc
	s_xor_b64 s[22:23], exec, s[0:1]
	s_cbranch_execz .LBB17_539
; %bb.530:                              ;   in Loop: Header=BB17_496 Depth=1
	v_mov_b32_e32 v12, 0
	v_cmp_ne_u32_e32 vcc, 0, v1
	s_and_saveexec_b64 s[24:25], vcc
	s_cbranch_execz .LBB17_538
; %bb.531:                              ;   in Loop: Header=BB17_496 Depth=1
	v_bfe_u32 v12, v1, 23, 8
	v_and_b32_e32 v3, 0x7fffff, v1
	v_sub_u32_e32 v1, 0x79, v12
	v_cmp_gt_u32_e32 vcc, s34, v12
	v_cndmask_b32_e32 v1, 0, v1, vcc
	v_cmp_eq_u32_e32 vcc, 0, v12
	v_cndmask_b32_e32 v18, v1, v14, vcc
	v_add_u32_e32 v1, 20, v18
	v_or_b32_e32 v5, 0x800000, v3
	v_lshlrev_b64 v[1:2], v1, -1
	v_cndmask_b32_e32 v5, v5, v3, vcc
	v_bfi_b32 v19, v1, 0, v5
	v_add_u32_e32 v1, 19, v18
	v_bfi_b32 v20, v2, 0, 0
	v_lshlrev_b64 v[21:22], v1, 1
	v_lshrrev_b64 v[1:2], v18, v[5:6]
	v_cmp_eq_u64_e64 s[0:1], v[19:20], v[21:22]
	v_mov_b32_e32 v3, v2
	v_mov_b32_e32 v2, v1
	s_and_saveexec_b64 s[26:27], s[0:1]
; %bb.532:                              ;   in Loop: Header=BB17_496 Depth=1
	v_bfe_u32 v2, v1, 20, 1
	v_add_co_u32_e64 v2, s[0:1], v1, v2
	v_add_co_u32_e64 v2, s[0:1], -1, v2
; %bb.533:                              ;   in Loop: Header=BB17_496 Depth=1
	s_or_b64 exec, exec, s[26:27]
	v_add_u32_e32 v3, 0xffffff81, v12
	v_cndmask_b32_e32 v3, v3, v15, vcc
	v_lshrrev_b32_e32 v5, 23, v1
	v_add3_u32 v18, v18, v3, v5
	v_add_u32_e32 v12, 6, v18
	v_and_b32_e32 v2, 0xfffff, v2
	v_add_u32_e32 v5, v2, v1
	v_cmp_ne_u32_e32 vcc, 0, v12
                                        ; implicit-def: $vgpr1_vgpr2
                                        ; implicit-def: $vgpr3
	s_and_saveexec_b64 s[0:1], vcc
	s_xor_b64 s[0:1], exec, s[0:1]
; %bb.534:                              ;   in Loop: Header=BB17_496 Depth=1
	v_cmp_lt_u64_e32 vcc, s[18:19], v[5:6]
	v_add_u32_e32 v1, 7, v18
	v_cndmask_b32_e32 v3, v12, v1, vcc
	v_cndmask_b32_e64 v1, 0, 1, vcc
	v_lshrrev_b64 v[1:2], v1, v[5:6]
; %bb.535:                              ;   in Loop: Header=BB17_496 Depth=1
	s_andn2_saveexec_b64 s[0:1], s[0:1]
; %bb.536:                              ;   in Loop: Header=BB17_496 Depth=1
	v_mov_b32_e32 v1, v5
	v_bfe_u32 v3, v5, 23, 1
	v_mov_b32_e32 v2, v6
; %bb.537:                              ;   in Loop: Header=BB17_496 Depth=1
	s_or_b64 exec, exec, s[0:1]
	v_lshrrev_b64 v[1:2], 20, v[1:2]
	v_cmp_gt_i32_e32 vcc, 16, v3
	v_cndmask_b32_e32 v2, 0, v2, vcc
	v_cndmask_b32_e32 v1, 7, v1, vcc
	v_cmp_eq_u64_e64 s[0:1], 0, v[1:2]
	v_min_i32_e32 v2, 15, v3
	v_lshlrev_b32_e32 v2, 3, v2
	v_cmp_eq_u32_e32 vcc, 0, v3
	v_and_b32_e32 v2, 0xf8, v2
	v_and_or_b32 v1, v1, 7, v2
	s_and_b64 s[0:1], vcc, s[0:1]
	v_cndmask_b32_e64 v1, v1, 0, s[0:1]
	v_or_b32_e32 v12, v1, v17
.LBB17_538:                             ;   in Loop: Header=BB17_496 Depth=1
	s_or_b64 exec, exec, s[24:25]
                                        ; implicit-def: $vgpr17
.LBB17_539:                             ;   in Loop: Header=BB17_496 Depth=1
	s_andn2_saveexec_b64 s[0:1], s[22:23]
; %bb.540:                              ;   in Loop: Header=BB17_496 Depth=1
	v_or_b32_e32 v12, 0x7e, v17
; %bb.541:                              ;   in Loop: Header=BB17_496 Depth=1
	s_or_b64 exec, exec, s[0:1]
                                        ; implicit-def: $vgpr1
.LBB17_542:                             ;   in Loop: Header=BB17_496 Depth=1
	s_andn2_saveexec_b64 s[0:1], s[20:21]
; %bb.543:                              ;   in Loop: Header=BB17_496 Depth=1
	v_or_b32_sdwa v12, v1, s35 dst_sel:DWORD dst_unused:UNUSED_PAD src0_sel:BYTE_3 src1_sel:DWORD
; %bb.544:                              ;   in Loop: Header=BB17_496 Depth=1
	s_or_b64 exec, exec, s[0:1]
	v_div_scale_f32 v1, s[0:1], s56, s56, v4
	v_div_scale_f32 v2, vcc, v4, s56, v4
	v_rcp_f32_e32 v3, v1
	v_fma_f32 v5, -v1, v3, 1.0
	v_fmac_f32_e32 v3, v5, v3
	v_mul_f32_e32 v5, v2, v3
	v_fma_f32 v17, -v1, v5, v2
	v_fmac_f32_e32 v5, v17, v3
	v_fma_f32 v1, -v1, v5, v2
	v_div_fmas_f32 v1, v1, v3, v5
	v_div_fixup_f32 v2, v1, s56, v4
	v_and_b32_e32 v5, 0x7f800000, v2
	v_cmp_ne_u64_e32 vcc, s[12:13], v[5:6]
                                        ; implicit-def: $vgpr1
	s_and_saveexec_b64 s[0:1], vcc
	s_xor_b64 s[20:21], exec, s[0:1]
	s_cbranch_execz .LBB17_558
; %bb.545:                              ;   in Loop: Header=BB17_496 Depth=1
	v_and_b32_e32 v5, 0x7fffffff, v2
	v_cmp_gt_u64_e32 vcc, s[16:17], v[5:6]
	v_and_b32_sdwa v4, v2, s31 dst_sel:DWORD dst_unused:UNUSED_PAD src0_sel:BYTE_3 src1_sel:DWORD
                                        ; implicit-def: $vgpr1
	s_and_saveexec_b64 s[0:1], vcc
	s_xor_b64 s[22:23], exec, s[0:1]
	s_cbranch_execz .LBB17_555
; %bb.546:                              ;   in Loop: Header=BB17_496 Depth=1
	v_mov_b32_e32 v1, 0
	v_cmp_ne_u32_e32 vcc, 0, v2
	s_and_saveexec_b64 s[24:25], vcc
	s_cbranch_execz .LBB17_554
; %bb.547:                              ;   in Loop: Header=BB17_496 Depth=1
	v_bfe_u32 v17, v2, 23, 8
	v_sub_u32_e32 v1, 0x79, v17
	v_cmp_gt_u32_e32 vcc, s34, v17
	v_cndmask_b32_e32 v1, 0, v1, vcc
	v_cmp_eq_u32_e32 vcc, 0, v17
	v_cndmask_b32_e32 v18, v1, v14, vcc
	v_and_b32_e32 v3, 0x7fffff, v2
	v_add_u32_e32 v1, 20, v18
	v_or_b32_e32 v5, 0x800000, v3
	v_lshlrev_b64 v[1:2], v1, -1
	v_cndmask_b32_e32 v5, v5, v3, vcc
	v_bfi_b32 v19, v1, 0, v5
	v_add_u32_e32 v1, 19, v18
	v_bfi_b32 v20, v2, 0, 0
	v_lshlrev_b64 v[21:22], v1, 1
	v_lshrrev_b64 v[1:2], v18, v[5:6]
	v_cmp_eq_u64_e64 s[0:1], v[19:20], v[21:22]
	v_mov_b32_e32 v3, v2
	v_mov_b32_e32 v2, v1
	s_and_saveexec_b64 s[26:27], s[0:1]
; %bb.548:                              ;   in Loop: Header=BB17_496 Depth=1
	v_bfe_u32 v2, v1, 20, 1
	v_add_co_u32_e64 v2, s[0:1], v1, v2
	v_add_co_u32_e64 v2, s[0:1], -1, v2
; %bb.549:                              ;   in Loop: Header=BB17_496 Depth=1
	s_or_b64 exec, exec, s[26:27]
	v_add_u32_e32 v3, 0xffffff81, v17
	v_cndmask_b32_e32 v3, v3, v15, vcc
	v_lshrrev_b32_e32 v5, 23, v1
	v_add3_u32 v18, v18, v3, v5
	v_add_u32_e32 v17, 6, v18
	v_and_b32_e32 v2, 0xfffff, v2
	v_add_u32_e32 v5, v2, v1
	v_cmp_ne_u32_e32 vcc, 0, v17
                                        ; implicit-def: $vgpr1_vgpr2
                                        ; implicit-def: $vgpr3
	s_and_saveexec_b64 s[0:1], vcc
	s_xor_b64 s[0:1], exec, s[0:1]
; %bb.550:                              ;   in Loop: Header=BB17_496 Depth=1
	v_cmp_lt_u64_e32 vcc, s[18:19], v[5:6]
	v_add_u32_e32 v1, 7, v18
	v_cndmask_b32_e32 v3, v17, v1, vcc
	v_cndmask_b32_e64 v1, 0, 1, vcc
	v_lshrrev_b64 v[1:2], v1, v[5:6]
; %bb.551:                              ;   in Loop: Header=BB17_496 Depth=1
	s_andn2_saveexec_b64 s[0:1], s[0:1]
; %bb.552:                              ;   in Loop: Header=BB17_496 Depth=1
	v_mov_b32_e32 v1, v5
	v_bfe_u32 v3, v5, 23, 1
	v_mov_b32_e32 v2, v6
; %bb.553:                              ;   in Loop: Header=BB17_496 Depth=1
	s_or_b64 exec, exec, s[0:1]
	v_lshrrev_b64 v[1:2], 20, v[1:2]
	v_cmp_gt_i32_e32 vcc, 16, v3
	v_cndmask_b32_e32 v2, 0, v2, vcc
	v_cndmask_b32_e32 v1, 7, v1, vcc
	v_cmp_eq_u64_e64 s[0:1], 0, v[1:2]
	v_min_i32_e32 v2, 15, v3
	v_lshlrev_b32_e32 v2, 3, v2
	v_cmp_eq_u32_e32 vcc, 0, v3
	v_and_b32_e32 v2, 0xf8, v2
	v_and_or_b32 v1, v1, 7, v2
	s_and_b64 s[0:1], vcc, s[0:1]
	v_cndmask_b32_e64 v1, v1, 0, s[0:1]
	v_or_b32_e32 v1, v1, v4
.LBB17_554:                             ;   in Loop: Header=BB17_496 Depth=1
	s_or_b64 exec, exec, s[24:25]
                                        ; implicit-def: $vgpr4
.LBB17_555:                             ;   in Loop: Header=BB17_496 Depth=1
	s_andn2_saveexec_b64 s[0:1], s[22:23]
; %bb.556:                              ;   in Loop: Header=BB17_496 Depth=1
	v_or_b32_e32 v1, 0x7e, v4
; %bb.557:                              ;   in Loop: Header=BB17_496 Depth=1
	s_or_b64 exec, exec, s[0:1]
                                        ; implicit-def: $vgpr2
.LBB17_558:                             ;   in Loop: Header=BB17_496 Depth=1
	s_andn2_saveexec_b64 s[0:1], s[20:21]
	s_cbranch_execz .LBB17_495
; %bb.559:                              ;   in Loop: Header=BB17_496 Depth=1
	v_or_b32_sdwa v1, v2, s35 dst_sel:DWORD dst_unused:UNUSED_PAD src0_sel:BYTE_3 src1_sel:DWORD
	s_branch .LBB17_495
.LBB17_560:
	s_or_b64 exec, exec, s[4:5]
.LBB17_561:
	s_and_b32 s0, s55, 15
	s_mov_b32 s1, 0
	s_cmp_lg_u64 s[0:1], 0
	s_cselect_b64 s[4:5], -1, 0
	s_xor_b64 s[2:3], s[2:3], -1
	s_or_b64 s[2:3], s[2:3], s[4:5]
	s_mov_b64 s[0:1], -1
	s_and_b64 vcc, exec, s[2:3]
	s_cbranch_vccz .LBB17_676
; %bb.562:
	s_sub_i32 s0, 0, s55
	s_bfe_u32 s0, s0, 0x20002
	s_min_i32 s2, s0, s38
	v_cmp_gt_i32_e32 vcc, s2, v0
	s_and_saveexec_b64 s[4:5], vcc
	s_cbranch_execz .LBB17_585
; %bb.563:
	v_mov_b32_e32 v2, 0
	s_add_u32 s0, s10, s6
	v_mov_b32_e32 v1, v2
	v_lshlrev_b32_e32 v3, 2, v0
	s_addc_u32 s1, s11, s7
	v_mov_b32_e32 v4, s1
	v_add_co_u32_e32 v3, vcc, s0, v3
	v_mov_b32_e32 v6, v1
	v_addc_co_u32_e32 v4, vcc, 0, v4, vcc
	s_lshl_b32 s3, s48, 2
	s_mov_b64 s[8:9], 0
	s_mov_b64 s[12:13], 0x7f800000
	s_movk_i32 s28, 0x80
	s_mov_b64 s[16:17], 0x43e00001
	s_movk_i32 s29, 0x7a
	;; [unrolled: 2-line block ×3, first 2 shown]
	v_mov_b32_e32 v10, 0x78
	v_mov_b32_e32 v11, 0xffffff82
	;; [unrolled: 1-line block ×3, first 2 shown]
	s_branch .LBB17_565
.LBB17_564:                             ;   in Loop: Header=BB17_565 Depth=1
	s_or_b64 exec, exec, s[0:1]
	v_mov_b32_e32 v8, s54
	v_add_co_u32_e32 v7, vcc, s53, v5
	v_addc_co_u32_e32 v8, vcc, v8, v6, vcc
	v_add_co_u32_e32 v5, vcc, s48, v5
	v_addc_co_u32_e32 v6, vcc, 0, v6, vcc
	v_cmp_le_i32_e32 vcc, s2, v5
	s_or_b64 s[8:9], vcc, s[8:9]
	v_add_co_u32_e32 v3, vcc, s3, v3
	v_addc_co_u32_e32 v4, vcc, 0, v4, vcc
	global_store_byte v[7:8], v1, off
	s_andn2_b64 exec, exec, s[8:9]
	s_cbranch_execz .LBB17_585
.LBB17_565:                             ; =>This Inner Loop Header: Depth=1
	global_load_dword v1, v[3:4], off
	s_waitcnt vmcnt(0)
	v_div_scale_f32 v7, s[0:1], s33, s33, v1
	v_div_scale_f32 v8, vcc, v1, s33, v1
	v_rcp_f32_e32 v9, v7
	v_fma_f32 v12, -v7, v9, 1.0
	v_fmac_f32_e32 v9, v12, v9
	v_mul_f32_e32 v12, v8, v9
	v_fma_f32 v13, -v7, v12, v8
	v_fmac_f32_e32 v12, v13, v9
	v_fma_f32 v7, -v7, v12, v8
	v_div_fmas_f32 v7, v7, v9, v12
	v_div_fixup_f32 v7, v7, s33, v1
	v_and_b32_e32 v1, 0x7f800000, v7
	v_cmp_ne_u64_e32 vcc, s[12:13], v[1:2]
                                        ; implicit-def: $vgpr1
	s_and_saveexec_b64 s[0:1], vcc
	s_xor_b64 s[20:21], exec, s[0:1]
	s_cbranch_execz .LBB17_583
; %bb.566:                              ;   in Loop: Header=BB17_565 Depth=1
	v_and_b32_e32 v1, 0x7fffffff, v7
	v_cmp_gt_u64_e32 vcc, s[16:17], v[1:2]
	v_and_b32_sdwa v12, v7, s28 dst_sel:DWORD dst_unused:UNUSED_PAD src0_sel:BYTE_3 src1_sel:DWORD
                                        ; implicit-def: $vgpr1
	s_and_saveexec_b64 s[0:1], vcc
	s_xor_b64 s[22:23], exec, s[0:1]
	s_cbranch_execz .LBB17_580
; %bb.567:                              ;   in Loop: Header=BB17_565 Depth=1
	v_cmp_ne_u32_e32 vcc, 0, v7
	v_mov_b32_e32 v1, 0
	s_and_saveexec_b64 s[24:25], vcc
	s_cbranch_execz .LBB17_579
; %bb.568:                              ;   in Loop: Header=BB17_565 Depth=1
	v_bfe_u32 v13, v7, 23, 8
	v_and_b32_e32 v1, 0x7fffff, v7
	v_sub_u32_e32 v7, 0x79, v13
	v_cmp_gt_u32_e32 vcc, s29, v13
	v_cndmask_b32_e32 v7, 0, v7, vcc
	v_cmp_eq_u32_e32 vcc, 0, v13
	v_cndmask_b32_e32 v14, v7, v10, vcc
	v_add_u32_e32 v7, 20, v14
	v_or_b32_e32 v9, 0x800000, v1
	v_lshlrev_b64 v[7:8], v7, -1
	v_cndmask_b32_e32 v1, v9, v1, vcc
	v_bfi_b32 v15, v7, 0, v1
	v_add_u32_e32 v7, 19, v14
	v_bfi_b32 v16, v8, 0, 0
	v_lshlrev_b64 v[17:18], v7, 1
	v_lshrrev_b64 v[7:8], v14, v[1:2]
	v_cmp_eq_u64_e64 s[0:1], v[15:16], v[17:18]
	v_mov_b32_e32 v9, v8
	v_mov_b32_e32 v8, v7
	s_and_saveexec_b64 s[26:27], s[0:1]
; %bb.569:                              ;   in Loop: Header=BB17_565 Depth=1
	v_bfe_u32 v1, v7, 20, 1
	v_add_co_u32_e64 v1, s[0:1], v7, v1
	v_add_co_u32_e64 v8, s[0:1], -1, v1
; %bb.570:                              ;   in Loop: Header=BB17_565 Depth=1
	s_or_b64 exec, exec, s[26:27]
	v_add_u32_e32 v1, 0xffffff81, v13
	v_cndmask_b32_e32 v1, v1, v11, vcc
	v_lshrrev_b32_e32 v9, 23, v7
	v_add3_u32 v14, v14, v1, v9
	v_add_u32_e32 v13, 6, v14
	v_and_b32_e32 v1, 0xfffff, v8
	v_add_u32_e32 v1, v1, v7
	v_cmp_ne_u32_e32 vcc, 0, v13
                                        ; implicit-def: $vgpr7_vgpr8
                                        ; implicit-def: $vgpr9
	s_and_saveexec_b64 s[0:1], vcc
	s_xor_b64 s[0:1], exec, s[0:1]
; %bb.571:                              ;   in Loop: Header=BB17_565 Depth=1
	v_cmp_lt_u64_e32 vcc, s[18:19], v[1:2]
	v_add_u32_e32 v7, 7, v14
	v_cndmask_b32_e32 v9, v13, v7, vcc
	v_cndmask_b32_e64 v7, 0, 1, vcc
	v_lshrrev_b64 v[7:8], v7, v[1:2]
; %bb.572:                              ;   in Loop: Header=BB17_565 Depth=1
	s_andn2_saveexec_b64 s[0:1], s[0:1]
; %bb.573:                              ;   in Loop: Header=BB17_565 Depth=1
	v_mov_b32_e32 v8, v2
	v_bfe_u32 v9, v1, 23, 1
	v_mov_b32_e32 v7, v1
; %bb.574:                              ;   in Loop: Header=BB17_565 Depth=1
	s_or_b64 exec, exec, s[0:1]
	v_lshrrev_b64 v[7:8], 20, v[7:8]
	v_cmp_gt_i32_e32 vcc, 16, v9
	v_cndmask_b32_e32 v8, 0, v8, vcc
	v_cndmask_b32_e32 v7, 7, v7, vcc
	v_cmp_ne_u64_e32 vcc, 0, v[7:8]
	v_cmp_ne_u32_e64 s[0:1], 0, v9
	s_or_b64 s[0:1], s[0:1], vcc
                                        ; implicit-def: $vgpr1
	s_and_saveexec_b64 s[26:27], s[0:1]
	s_xor_b64 s[0:1], exec, s[26:27]
; %bb.575:                              ;   in Loop: Header=BB17_565 Depth=1
	v_min_i32_e32 v1, 15, v9
	v_lshl_or_b32 v1, v1, 3, v12
	v_and_or_b32 v1, v7, 7, v1
                                        ; implicit-def: $vgpr12
; %bb.576:                              ;   in Loop: Header=BB17_565 Depth=1
	s_andn2_saveexec_b64 s[0:1], s[0:1]
; %bb.577:                              ;   in Loop: Header=BB17_565 Depth=1
	v_mov_b32_e32 v1, v12
; %bb.578:                              ;   in Loop: Header=BB17_565 Depth=1
	s_or_b64 exec, exec, s[0:1]
.LBB17_579:                             ;   in Loop: Header=BB17_565 Depth=1
	s_or_b64 exec, exec, s[24:25]
                                        ; implicit-def: $vgpr12
.LBB17_580:                             ;   in Loop: Header=BB17_565 Depth=1
	s_andn2_saveexec_b64 s[0:1], s[22:23]
; %bb.581:                              ;   in Loop: Header=BB17_565 Depth=1
	v_or_b32_e32 v1, 0x7e, v12
; %bb.582:                              ;   in Loop: Header=BB17_565 Depth=1
	s_or_b64 exec, exec, s[0:1]
                                        ; implicit-def: $vgpr7
.LBB17_583:                             ;   in Loop: Header=BB17_565 Depth=1
	s_andn2_saveexec_b64 s[0:1], s[20:21]
	s_cbranch_execz .LBB17_564
; %bb.584:                              ;   in Loop: Header=BB17_565 Depth=1
	v_or_b32_sdwa v1, v7, s30 dst_sel:DWORD dst_unused:UNUSED_PAD src0_sel:BYTE_3 src1_sel:DWORD
	s_branch .LBB17_564
.LBB17_585:
	s_or_b64 exec, exec, s[4:5]
	s_sub_i32 s28, s38, s2
	s_ashr_i32 s0, s28, 31
	s_lshr_b32 s0, s0, 30
	s_add_i32 s0, s28, s0
	s_ashr_i32 s29, s0, 2
	s_ashr_i32 s3, s2, 31
	v_cmp_gt_i32_e32 vcc, s29, v0
	s_and_saveexec_b64 s[4:5], vcc
	s_cbranch_execz .LBB17_652
; %bb.586:
	s_add_u32 s0, s2, s50
	s_addc_u32 s1, s3, s49
	s_add_u32 s0, s0, s52
	s_addc_u32 s1, s1, s51
	s_add_u32 s0, s14, s0
	v_lshlrev_b32_e32 v1, 2, v0
	s_addc_u32 s1, s15, s1
	v_mov_b32_e32 v2, s1
	v_add_co_u32_e32 v7, vcc, s0, v1
	s_lshl_b32 s30, s48, 2
	s_lshl_b64 s[0:1], s[2:3], 2
	s_add_u32 s0, s10, s0
	s_addc_u32 s1, s11, s1
	s_add_u32 s0, s0, s6
	v_addc_co_u32_e32 v8, vcc, 0, v2, vcc
	v_lshlrev_b32_e32 v1, 4, v0
	s_addc_u32 s1, s1, s7
	v_mov_b32_e32 v2, s1
	v_add_co_u32_e32 v1, vcc, s0, v1
	v_addc_co_u32_e32 v2, vcc, 0, v2, vcc
	v_add_co_u32_e32 v9, vcc, 8, v1
	v_mov_b32_e32 v6, 0
	v_addc_co_u32_e32 v10, vcc, 0, v2, vcc
	s_lshl_b32 s31, s48, 4
	s_mov_b64 s[8:9], 0
	s_mov_b64 s[12:13], 0x7f800000
	s_movk_i32 s34, 0x80
	s_mov_b64 s[16:17], 0x43e00001
	s_movk_i32 s35, 0x7a
	;; [unrolled: 2-line block ×3, first 2 shown]
	v_mov_b32_e32 v14, 0x78
	v_mov_b32_e32 v15, 0xffffff82
	v_mov_b32_e32 v16, v0
	s_branch .LBB17_588
.LBB17_587:                             ;   in Loop: Header=BB17_588 Depth=1
	s_or_b64 exec, exec, s[0:1]
	v_lshlrev_b32_e32 v1, 24, v1
	v_lshlrev_b32_e32 v2, 16, v12
	v_lshl_or_b32 v3, v11, 8, v13
	v_or3_b32 v1, v3, v2, v1
	global_store_dword v[7:8], v1, off
	v_add_co_u32_e32 v7, vcc, s30, v7
	v_add_u32_e32 v16, s48, v16
	v_addc_co_u32_e32 v8, vcc, 0, v8, vcc
	v_cmp_le_i32_e32 vcc, s29, v16
	s_or_b64 s[8:9], vcc, s[8:9]
	v_add_co_u32_e32 v9, vcc, s31, v9
	v_addc_co_u32_e32 v10, vcc, 0, v10, vcc
	s_andn2_b64 exec, exec, s[8:9]
	s_cbranch_execz .LBB17_652
.LBB17_588:                             ; =>This Inner Loop Header: Depth=1
	global_load_dwordx4 v[1:4], v[9:10], off offset:-8
	s_waitcnt vmcnt(0)
	v_div_scale_f32 v5, s[0:1], s33, s33, v1
	v_div_scale_f32 v11, vcc, v1, s33, v1
	v_rcp_f32_e32 v12, v5
	v_fma_f32 v13, -v5, v12, 1.0
	v_fmac_f32_e32 v12, v13, v12
	v_mul_f32_e32 v13, v11, v12
	v_fma_f32 v17, -v5, v13, v11
	v_fmac_f32_e32 v13, v17, v12
	v_fma_f32 v5, -v5, v13, v11
	v_div_fmas_f32 v5, v5, v12, v13
                                        ; implicit-def: $vgpr13
	v_div_fixup_f32 v11, v5, s33, v1
	v_and_b32_e32 v5, 0x7f800000, v11
	v_cmp_ne_u64_e32 vcc, s[12:13], v[5:6]
	s_and_saveexec_b64 s[0:1], vcc
	s_xor_b64 s[20:21], exec, s[0:1]
	s_cbranch_execz .LBB17_602
; %bb.589:                              ;   in Loop: Header=BB17_588 Depth=1
	v_and_b32_e32 v5, 0x7fffffff, v11
	v_cmp_gt_u64_e32 vcc, s[16:17], v[5:6]
	v_and_b32_sdwa v1, v11, s34 dst_sel:DWORD dst_unused:UNUSED_PAD src0_sel:BYTE_3 src1_sel:DWORD
                                        ; implicit-def: $vgpr13
	s_and_saveexec_b64 s[0:1], vcc
	s_xor_b64 s[22:23], exec, s[0:1]
	s_cbranch_execz .LBB17_599
; %bb.590:                              ;   in Loop: Header=BB17_588 Depth=1
	v_mov_b32_e32 v13, 0
	v_cmp_ne_u32_e32 vcc, 0, v11
	s_and_saveexec_b64 s[24:25], vcc
	s_cbranch_execz .LBB17_598
; %bb.591:                              ;   in Loop: Header=BB17_588 Depth=1
	v_bfe_u32 v17, v11, 23, 8
	v_and_b32_e32 v5, 0x7fffff, v11
	v_sub_u32_e32 v11, 0x79, v17
	v_cmp_gt_u32_e32 vcc, s35, v17
	v_cndmask_b32_e32 v11, 0, v11, vcc
	v_cmp_eq_u32_e32 vcc, 0, v17
	v_cndmask_b32_e32 v18, v11, v14, vcc
	v_add_u32_e32 v11, 20, v18
	v_or_b32_e32 v13, 0x800000, v5
	v_lshlrev_b64 v[11:12], v11, -1
	v_cndmask_b32_e32 v5, v13, v5, vcc
	v_bfi_b32 v19, v11, 0, v5
	v_add_u32_e32 v11, 19, v18
	v_bfi_b32 v20, v12, 0, 0
	v_lshlrev_b64 v[21:22], v11, 1
	v_lshrrev_b64 v[11:12], v18, v[5:6]
	v_cmp_eq_u64_e64 s[0:1], v[19:20], v[21:22]
	v_mov_b32_e32 v13, v12
	v_mov_b32_e32 v12, v11
	s_and_saveexec_b64 s[26:27], s[0:1]
; %bb.592:                              ;   in Loop: Header=BB17_588 Depth=1
	v_bfe_u32 v5, v11, 20, 1
	v_add_co_u32_e64 v5, s[0:1], v11, v5
	v_add_co_u32_e64 v12, s[0:1], -1, v5
; %bb.593:                              ;   in Loop: Header=BB17_588 Depth=1
	s_or_b64 exec, exec, s[26:27]
	v_add_u32_e32 v5, 0xffffff81, v17
	v_cndmask_b32_e32 v5, v5, v15, vcc
	v_lshrrev_b32_e32 v13, 23, v11
	v_add3_u32 v18, v18, v5, v13
	v_add_u32_e32 v17, 6, v18
	v_and_b32_e32 v5, 0xfffff, v12
	v_add_u32_e32 v5, v5, v11
	v_cmp_ne_u32_e32 vcc, 0, v17
                                        ; implicit-def: $vgpr11_vgpr12
                                        ; implicit-def: $vgpr13
	s_and_saveexec_b64 s[0:1], vcc
	s_xor_b64 s[0:1], exec, s[0:1]
; %bb.594:                              ;   in Loop: Header=BB17_588 Depth=1
	v_cmp_lt_u64_e32 vcc, s[18:19], v[5:6]
	v_add_u32_e32 v11, 7, v18
	v_cndmask_b32_e32 v13, v17, v11, vcc
	v_cndmask_b32_e64 v11, 0, 1, vcc
	v_lshrrev_b64 v[11:12], v11, v[5:6]
; %bb.595:                              ;   in Loop: Header=BB17_588 Depth=1
	s_andn2_saveexec_b64 s[0:1], s[0:1]
; %bb.596:                              ;   in Loop: Header=BB17_588 Depth=1
	v_mov_b32_e32 v12, v6
	v_bfe_u32 v13, v5, 23, 1
	v_mov_b32_e32 v11, v5
; %bb.597:                              ;   in Loop: Header=BB17_588 Depth=1
	s_or_b64 exec, exec, s[0:1]
	v_lshrrev_b64 v[11:12], 20, v[11:12]
	v_cmp_gt_i32_e32 vcc, 16, v13
	v_cndmask_b32_e32 v12, 0, v12, vcc
	v_cndmask_b32_e32 v11, 7, v11, vcc
	v_min_i32_e32 v5, 15, v13
	v_cmp_eq_u64_e64 s[0:1], 0, v[11:12]
	v_lshlrev_b32_e32 v5, 3, v5
	v_cmp_eq_u32_e32 vcc, 0, v13
	v_and_b32_e32 v5, 0xf8, v5
	v_and_or_b32 v5, v11, 7, v5
	s_and_b64 s[0:1], vcc, s[0:1]
	v_cndmask_b32_e64 v5, v5, 0, s[0:1]
	v_or_b32_e32 v13, v5, v1
.LBB17_598:                             ;   in Loop: Header=BB17_588 Depth=1
	s_or_b64 exec, exec, s[24:25]
                                        ; implicit-def: $vgpr1
.LBB17_599:                             ;   in Loop: Header=BB17_588 Depth=1
	s_andn2_saveexec_b64 s[0:1], s[22:23]
; %bb.600:                              ;   in Loop: Header=BB17_588 Depth=1
	v_or_b32_e32 v13, 0x7e, v1
; %bb.601:                              ;   in Loop: Header=BB17_588 Depth=1
	s_or_b64 exec, exec, s[0:1]
                                        ; implicit-def: $vgpr11
.LBB17_602:                             ;   in Loop: Header=BB17_588 Depth=1
	s_andn2_saveexec_b64 s[0:1], s[20:21]
; %bb.603:                              ;   in Loop: Header=BB17_588 Depth=1
	v_or_b32_sdwa v13, v11, s36 dst_sel:DWORD dst_unused:UNUSED_PAD src0_sel:BYTE_3 src1_sel:DWORD
; %bb.604:                              ;   in Loop: Header=BB17_588 Depth=1
	s_or_b64 exec, exec, s[0:1]
	v_div_scale_f32 v1, s[0:1], s33, s33, v2
	v_div_scale_f32 v5, vcc, v2, s33, v2
	v_rcp_f32_e32 v11, v1
	v_fma_f32 v12, -v1, v11, 1.0
	v_fmac_f32_e32 v11, v12, v11
	v_mul_f32_e32 v12, v5, v11
	v_fma_f32 v17, -v1, v12, v5
	v_fmac_f32_e32 v12, v17, v11
	v_fma_f32 v1, -v1, v12, v5
	v_div_fmas_f32 v1, v1, v11, v12
                                        ; implicit-def: $vgpr11
	v_div_fixup_f32 v1, v1, s33, v2
	v_and_b32_e32 v5, 0x7f800000, v1
	v_cmp_ne_u64_e32 vcc, s[12:13], v[5:6]
	s_and_saveexec_b64 s[0:1], vcc
	s_xor_b64 s[20:21], exec, s[0:1]
	s_cbranch_execz .LBB17_618
; %bb.605:                              ;   in Loop: Header=BB17_588 Depth=1
	v_and_b32_e32 v5, 0x7fffffff, v1
	v_cmp_gt_u64_e32 vcc, s[16:17], v[5:6]
	v_and_b32_sdwa v17, v1, s34 dst_sel:DWORD dst_unused:UNUSED_PAD src0_sel:BYTE_3 src1_sel:DWORD
                                        ; implicit-def: $vgpr11
	s_and_saveexec_b64 s[0:1], vcc
	s_xor_b64 s[22:23], exec, s[0:1]
	s_cbranch_execz .LBB17_615
; %bb.606:                              ;   in Loop: Header=BB17_588 Depth=1
	v_mov_b32_e32 v11, 0
	v_cmp_ne_u32_e32 vcc, 0, v1
	s_and_saveexec_b64 s[24:25], vcc
	s_cbranch_execz .LBB17_614
; %bb.607:                              ;   in Loop: Header=BB17_588 Depth=1
	v_bfe_u32 v18, v1, 23, 8
	v_and_b32_e32 v5, 0x7fffff, v1
	v_sub_u32_e32 v1, 0x79, v18
	v_cmp_gt_u32_e32 vcc, s35, v18
	v_cndmask_b32_e32 v1, 0, v1, vcc
	v_cmp_eq_u32_e32 vcc, 0, v18
	v_cndmask_b32_e32 v19, v1, v14, vcc
	v_add_u32_e32 v1, 20, v19
	v_or_b32_e32 v11, 0x800000, v5
	v_lshlrev_b64 v[1:2], v1, -1
	v_cndmask_b32_e32 v5, v11, v5, vcc
	v_bfi_b32 v11, v1, 0, v5
	v_add_u32_e32 v1, 19, v19
	v_bfi_b32 v12, v2, 0, 0
	v_lshlrev_b64 v[20:21], v1, 1
	v_lshrrev_b64 v[1:2], v19, v[5:6]
	v_cmp_eq_u64_e64 s[0:1], v[11:12], v[20:21]
	v_mov_b32_e32 v12, v2
	v_mov_b32_e32 v11, v1
	s_and_saveexec_b64 s[26:27], s[0:1]
; %bb.608:                              ;   in Loop: Header=BB17_588 Depth=1
	v_bfe_u32 v2, v1, 20, 1
	v_add_co_u32_e64 v2, s[0:1], v1, v2
	v_add_co_u32_e64 v11, s[0:1], -1, v2
; %bb.609:                              ;   in Loop: Header=BB17_588 Depth=1
	s_or_b64 exec, exec, s[26:27]
	v_add_u32_e32 v2, 0xffffff81, v18
	v_cndmask_b32_e32 v2, v2, v15, vcc
	v_lshrrev_b32_e32 v5, 23, v1
	v_add3_u32 v18, v19, v2, v5
	v_add_u32_e32 v12, 6, v18
	v_and_b32_e32 v2, 0xfffff, v11
	v_add_u32_e32 v5, v2, v1
	v_cmp_ne_u32_e32 vcc, 0, v12
                                        ; implicit-def: $vgpr1_vgpr2
                                        ; implicit-def: $vgpr11
	s_and_saveexec_b64 s[0:1], vcc
	s_xor_b64 s[0:1], exec, s[0:1]
; %bb.610:                              ;   in Loop: Header=BB17_588 Depth=1
	v_cmp_lt_u64_e32 vcc, s[18:19], v[5:6]
	v_add_u32_e32 v1, 7, v18
	v_cndmask_b32_e32 v11, v12, v1, vcc
	v_cndmask_b32_e64 v1, 0, 1, vcc
	v_lshrrev_b64 v[1:2], v1, v[5:6]
; %bb.611:                              ;   in Loop: Header=BB17_588 Depth=1
	s_andn2_saveexec_b64 s[0:1], s[0:1]
; %bb.612:                              ;   in Loop: Header=BB17_588 Depth=1
	v_mov_b32_e32 v1, v5
	v_bfe_u32 v11, v5, 23, 1
	v_mov_b32_e32 v2, v6
; %bb.613:                              ;   in Loop: Header=BB17_588 Depth=1
	s_or_b64 exec, exec, s[0:1]
	v_lshrrev_b64 v[1:2], 20, v[1:2]
	v_cmp_gt_i32_e32 vcc, 16, v11
	v_cndmask_b32_e32 v2, 0, v2, vcc
	v_cndmask_b32_e32 v1, 7, v1, vcc
	v_cmp_eq_u64_e64 s[0:1], 0, v[1:2]
	v_min_i32_e32 v2, 15, v11
	v_lshlrev_b32_e32 v2, 3, v2
	v_cmp_eq_u32_e32 vcc, 0, v11
	v_and_b32_e32 v2, 0xf8, v2
	v_and_or_b32 v1, v1, 7, v2
	s_and_b64 s[0:1], vcc, s[0:1]
	v_cndmask_b32_e64 v1, v1, 0, s[0:1]
	v_or_b32_e32 v11, v1, v17
.LBB17_614:                             ;   in Loop: Header=BB17_588 Depth=1
	s_or_b64 exec, exec, s[24:25]
                                        ; implicit-def: $vgpr17
.LBB17_615:                             ;   in Loop: Header=BB17_588 Depth=1
	s_andn2_saveexec_b64 s[0:1], s[22:23]
; %bb.616:                              ;   in Loop: Header=BB17_588 Depth=1
	v_or_b32_e32 v11, 0x7e, v17
; %bb.617:                              ;   in Loop: Header=BB17_588 Depth=1
	s_or_b64 exec, exec, s[0:1]
                                        ; implicit-def: $vgpr1
.LBB17_618:                             ;   in Loop: Header=BB17_588 Depth=1
	s_andn2_saveexec_b64 s[0:1], s[20:21]
; %bb.619:                              ;   in Loop: Header=BB17_588 Depth=1
	v_or_b32_sdwa v11, v1, s36 dst_sel:DWORD dst_unused:UNUSED_PAD src0_sel:BYTE_3 src1_sel:DWORD
; %bb.620:                              ;   in Loop: Header=BB17_588 Depth=1
	s_or_b64 exec, exec, s[0:1]
	v_div_scale_f32 v1, s[0:1], s33, s33, v3
	v_div_scale_f32 v2, vcc, v3, s33, v3
	v_rcp_f32_e32 v5, v1
	v_fma_f32 v12, -v1, v5, 1.0
	v_fmac_f32_e32 v5, v12, v5
	v_mul_f32_e32 v12, v2, v5
	v_fma_f32 v17, -v1, v12, v2
	v_fmac_f32_e32 v12, v17, v5
	v_fma_f32 v1, -v1, v12, v2
	v_div_fmas_f32 v1, v1, v5, v12
                                        ; implicit-def: $vgpr12
	v_div_fixup_f32 v1, v1, s33, v3
	v_and_b32_e32 v5, 0x7f800000, v1
	v_cmp_ne_u64_e32 vcc, s[12:13], v[5:6]
	s_and_saveexec_b64 s[0:1], vcc
	s_xor_b64 s[20:21], exec, s[0:1]
	s_cbranch_execz .LBB17_634
; %bb.621:                              ;   in Loop: Header=BB17_588 Depth=1
	v_and_b32_e32 v5, 0x7fffffff, v1
	v_cmp_gt_u64_e32 vcc, s[16:17], v[5:6]
	v_and_b32_sdwa v17, v1, s34 dst_sel:DWORD dst_unused:UNUSED_PAD src0_sel:BYTE_3 src1_sel:DWORD
                                        ; implicit-def: $vgpr12
	s_and_saveexec_b64 s[0:1], vcc
	s_xor_b64 s[22:23], exec, s[0:1]
	s_cbranch_execz .LBB17_631
; %bb.622:                              ;   in Loop: Header=BB17_588 Depth=1
	v_mov_b32_e32 v12, 0
	v_cmp_ne_u32_e32 vcc, 0, v1
	s_and_saveexec_b64 s[24:25], vcc
	s_cbranch_execz .LBB17_630
; %bb.623:                              ;   in Loop: Header=BB17_588 Depth=1
	v_bfe_u32 v12, v1, 23, 8
	v_and_b32_e32 v3, 0x7fffff, v1
	v_sub_u32_e32 v1, 0x79, v12
	v_cmp_gt_u32_e32 vcc, s35, v12
	v_cndmask_b32_e32 v1, 0, v1, vcc
	v_cmp_eq_u32_e32 vcc, 0, v12
	v_cndmask_b32_e32 v18, v1, v14, vcc
	v_add_u32_e32 v1, 20, v18
	v_or_b32_e32 v5, 0x800000, v3
	v_lshlrev_b64 v[1:2], v1, -1
	v_cndmask_b32_e32 v5, v5, v3, vcc
	v_bfi_b32 v19, v1, 0, v5
	v_add_u32_e32 v1, 19, v18
	v_bfi_b32 v20, v2, 0, 0
	v_lshlrev_b64 v[21:22], v1, 1
	v_lshrrev_b64 v[1:2], v18, v[5:6]
	v_cmp_eq_u64_e64 s[0:1], v[19:20], v[21:22]
	v_mov_b32_e32 v3, v2
	v_mov_b32_e32 v2, v1
	s_and_saveexec_b64 s[26:27], s[0:1]
; %bb.624:                              ;   in Loop: Header=BB17_588 Depth=1
	v_bfe_u32 v2, v1, 20, 1
	v_add_co_u32_e64 v2, s[0:1], v1, v2
	v_add_co_u32_e64 v2, s[0:1], -1, v2
; %bb.625:                              ;   in Loop: Header=BB17_588 Depth=1
	s_or_b64 exec, exec, s[26:27]
	v_add_u32_e32 v3, 0xffffff81, v12
	v_cndmask_b32_e32 v3, v3, v15, vcc
	v_lshrrev_b32_e32 v5, 23, v1
	v_add3_u32 v18, v18, v3, v5
	v_add_u32_e32 v12, 6, v18
	v_and_b32_e32 v2, 0xfffff, v2
	v_add_u32_e32 v5, v2, v1
	v_cmp_ne_u32_e32 vcc, 0, v12
                                        ; implicit-def: $vgpr1_vgpr2
                                        ; implicit-def: $vgpr3
	s_and_saveexec_b64 s[0:1], vcc
	s_xor_b64 s[0:1], exec, s[0:1]
; %bb.626:                              ;   in Loop: Header=BB17_588 Depth=1
	v_cmp_lt_u64_e32 vcc, s[18:19], v[5:6]
	v_add_u32_e32 v1, 7, v18
	v_cndmask_b32_e32 v3, v12, v1, vcc
	v_cndmask_b32_e64 v1, 0, 1, vcc
	v_lshrrev_b64 v[1:2], v1, v[5:6]
; %bb.627:                              ;   in Loop: Header=BB17_588 Depth=1
	s_andn2_saveexec_b64 s[0:1], s[0:1]
; %bb.628:                              ;   in Loop: Header=BB17_588 Depth=1
	v_mov_b32_e32 v1, v5
	v_bfe_u32 v3, v5, 23, 1
	v_mov_b32_e32 v2, v6
; %bb.629:                              ;   in Loop: Header=BB17_588 Depth=1
	s_or_b64 exec, exec, s[0:1]
	v_lshrrev_b64 v[1:2], 20, v[1:2]
	v_cmp_gt_i32_e32 vcc, 16, v3
	v_cndmask_b32_e32 v2, 0, v2, vcc
	v_cndmask_b32_e32 v1, 7, v1, vcc
	v_cmp_eq_u64_e64 s[0:1], 0, v[1:2]
	v_min_i32_e32 v2, 15, v3
	v_lshlrev_b32_e32 v2, 3, v2
	v_cmp_eq_u32_e32 vcc, 0, v3
	v_and_b32_e32 v2, 0xf8, v2
	v_and_or_b32 v1, v1, 7, v2
	s_and_b64 s[0:1], vcc, s[0:1]
	v_cndmask_b32_e64 v1, v1, 0, s[0:1]
	v_or_b32_e32 v12, v1, v17
.LBB17_630:                             ;   in Loop: Header=BB17_588 Depth=1
	s_or_b64 exec, exec, s[24:25]
                                        ; implicit-def: $vgpr17
.LBB17_631:                             ;   in Loop: Header=BB17_588 Depth=1
	s_andn2_saveexec_b64 s[0:1], s[22:23]
; %bb.632:                              ;   in Loop: Header=BB17_588 Depth=1
	v_or_b32_e32 v12, 0x7e, v17
; %bb.633:                              ;   in Loop: Header=BB17_588 Depth=1
	s_or_b64 exec, exec, s[0:1]
                                        ; implicit-def: $vgpr1
.LBB17_634:                             ;   in Loop: Header=BB17_588 Depth=1
	s_andn2_saveexec_b64 s[0:1], s[20:21]
; %bb.635:                              ;   in Loop: Header=BB17_588 Depth=1
	v_or_b32_sdwa v12, v1, s36 dst_sel:DWORD dst_unused:UNUSED_PAD src0_sel:BYTE_3 src1_sel:DWORD
; %bb.636:                              ;   in Loop: Header=BB17_588 Depth=1
	s_or_b64 exec, exec, s[0:1]
	v_div_scale_f32 v1, s[0:1], s33, s33, v4
	v_div_scale_f32 v2, vcc, v4, s33, v4
	v_rcp_f32_e32 v3, v1
	v_fma_f32 v5, -v1, v3, 1.0
	v_fmac_f32_e32 v3, v5, v3
	v_mul_f32_e32 v5, v2, v3
	v_fma_f32 v17, -v1, v5, v2
	v_fmac_f32_e32 v5, v17, v3
	v_fma_f32 v1, -v1, v5, v2
	v_div_fmas_f32 v1, v1, v3, v5
	v_div_fixup_f32 v2, v1, s33, v4
	v_and_b32_e32 v5, 0x7f800000, v2
	v_cmp_ne_u64_e32 vcc, s[12:13], v[5:6]
                                        ; implicit-def: $vgpr1
	s_and_saveexec_b64 s[0:1], vcc
	s_xor_b64 s[20:21], exec, s[0:1]
	s_cbranch_execz .LBB17_650
; %bb.637:                              ;   in Loop: Header=BB17_588 Depth=1
	v_and_b32_e32 v5, 0x7fffffff, v2
	v_cmp_gt_u64_e32 vcc, s[16:17], v[5:6]
	v_and_b32_sdwa v4, v2, s34 dst_sel:DWORD dst_unused:UNUSED_PAD src0_sel:BYTE_3 src1_sel:DWORD
                                        ; implicit-def: $vgpr1
	s_and_saveexec_b64 s[0:1], vcc
	s_xor_b64 s[22:23], exec, s[0:1]
	s_cbranch_execz .LBB17_647
; %bb.638:                              ;   in Loop: Header=BB17_588 Depth=1
	v_mov_b32_e32 v1, 0
	v_cmp_ne_u32_e32 vcc, 0, v2
	s_and_saveexec_b64 s[24:25], vcc
	s_cbranch_execz .LBB17_646
; %bb.639:                              ;   in Loop: Header=BB17_588 Depth=1
	v_bfe_u32 v17, v2, 23, 8
	v_sub_u32_e32 v1, 0x79, v17
	v_cmp_gt_u32_e32 vcc, s35, v17
	v_cndmask_b32_e32 v1, 0, v1, vcc
	v_cmp_eq_u32_e32 vcc, 0, v17
	v_cndmask_b32_e32 v18, v1, v14, vcc
	v_and_b32_e32 v3, 0x7fffff, v2
	v_add_u32_e32 v1, 20, v18
	v_or_b32_e32 v5, 0x800000, v3
	v_lshlrev_b64 v[1:2], v1, -1
	v_cndmask_b32_e32 v5, v5, v3, vcc
	v_bfi_b32 v19, v1, 0, v5
	v_add_u32_e32 v1, 19, v18
	v_bfi_b32 v20, v2, 0, 0
	v_lshlrev_b64 v[21:22], v1, 1
	v_lshrrev_b64 v[1:2], v18, v[5:6]
	v_cmp_eq_u64_e64 s[0:1], v[19:20], v[21:22]
	v_mov_b32_e32 v3, v2
	v_mov_b32_e32 v2, v1
	s_and_saveexec_b64 s[26:27], s[0:1]
; %bb.640:                              ;   in Loop: Header=BB17_588 Depth=1
	v_bfe_u32 v2, v1, 20, 1
	v_add_co_u32_e64 v2, s[0:1], v1, v2
	v_add_co_u32_e64 v2, s[0:1], -1, v2
; %bb.641:                              ;   in Loop: Header=BB17_588 Depth=1
	s_or_b64 exec, exec, s[26:27]
	v_add_u32_e32 v3, 0xffffff81, v17
	v_cndmask_b32_e32 v3, v3, v15, vcc
	v_lshrrev_b32_e32 v5, 23, v1
	v_add3_u32 v18, v18, v3, v5
	v_add_u32_e32 v17, 6, v18
	v_and_b32_e32 v2, 0xfffff, v2
	v_add_u32_e32 v5, v2, v1
	v_cmp_ne_u32_e32 vcc, 0, v17
                                        ; implicit-def: $vgpr1_vgpr2
                                        ; implicit-def: $vgpr3
	s_and_saveexec_b64 s[0:1], vcc
	s_xor_b64 s[0:1], exec, s[0:1]
; %bb.642:                              ;   in Loop: Header=BB17_588 Depth=1
	v_cmp_lt_u64_e32 vcc, s[18:19], v[5:6]
	v_add_u32_e32 v1, 7, v18
	v_cndmask_b32_e32 v3, v17, v1, vcc
	v_cndmask_b32_e64 v1, 0, 1, vcc
	v_lshrrev_b64 v[1:2], v1, v[5:6]
; %bb.643:                              ;   in Loop: Header=BB17_588 Depth=1
	s_andn2_saveexec_b64 s[0:1], s[0:1]
; %bb.644:                              ;   in Loop: Header=BB17_588 Depth=1
	v_mov_b32_e32 v1, v5
	v_bfe_u32 v3, v5, 23, 1
	v_mov_b32_e32 v2, v6
; %bb.645:                              ;   in Loop: Header=BB17_588 Depth=1
	s_or_b64 exec, exec, s[0:1]
	v_lshrrev_b64 v[1:2], 20, v[1:2]
	v_cmp_gt_i32_e32 vcc, 16, v3
	v_cndmask_b32_e32 v2, 0, v2, vcc
	v_cndmask_b32_e32 v1, 7, v1, vcc
	v_cmp_eq_u64_e64 s[0:1], 0, v[1:2]
	v_min_i32_e32 v2, 15, v3
	v_lshlrev_b32_e32 v2, 3, v2
	v_cmp_eq_u32_e32 vcc, 0, v3
	v_and_b32_e32 v2, 0xf8, v2
	v_and_or_b32 v1, v1, 7, v2
	s_and_b64 s[0:1], vcc, s[0:1]
	v_cndmask_b32_e64 v1, v1, 0, s[0:1]
	v_or_b32_e32 v1, v1, v4
.LBB17_646:                             ;   in Loop: Header=BB17_588 Depth=1
	s_or_b64 exec, exec, s[24:25]
                                        ; implicit-def: $vgpr4
.LBB17_647:                             ;   in Loop: Header=BB17_588 Depth=1
	s_andn2_saveexec_b64 s[0:1], s[22:23]
; %bb.648:                              ;   in Loop: Header=BB17_588 Depth=1
	v_or_b32_e32 v1, 0x7e, v4
; %bb.649:                              ;   in Loop: Header=BB17_588 Depth=1
	s_or_b64 exec, exec, s[0:1]
                                        ; implicit-def: $vgpr2
.LBB17_650:                             ;   in Loop: Header=BB17_588 Depth=1
	s_andn2_saveexec_b64 s[0:1], s[20:21]
	s_cbranch_execz .LBB17_587
; %bb.651:                              ;   in Loop: Header=BB17_588 Depth=1
	v_or_b32_sdwa v1, v2, s36 dst_sel:DWORD dst_unused:UNUSED_PAD src0_sel:BYTE_3 src1_sel:DWORD
	s_branch .LBB17_587
.LBB17_652:
	s_or_b64 exec, exec, s[4:5]
	v_lshl_add_u32 v1, s29, 2, v0
	v_cmp_gt_i32_e32 vcc, s28, v1
	s_and_saveexec_b64 s[4:5], vcc
	s_cbranch_execz .LBB17_675
; %bb.653:
	s_lshl_b64 s[0:1], s[2:3], 2
	s_add_u32 s0, s6, s0
	s_addc_u32 s1, s7, s1
	v_ashrrev_i32_e32 v2, 31, v1
	v_lshlrev_b64 v[4:5], 2, v[1:2]
	s_add_u32 s0, s10, s0
	s_addc_u32 s1, s11, s1
	s_lshl_b32 s29, s48, 2
	v_add_co_u32_e32 v4, vcc, s0, v4
	s_add_u32 s0, s2, s50
	v_mov_b32_e32 v6, s1
	s_addc_u32 s1, s3, s49
	s_add_u32 s0, s0, s52
	s_addc_u32 s1, s1, s51
	s_add_u32 s0, s14, s0
	v_addc_co_u32_e32 v5, vcc, v6, v5, vcc
	s_addc_u32 s1, s15, s1
	v_mov_b32_e32 v6, s1
	v_add_co_u32_e32 v9, vcc, s0, v1
	v_mov_b32_e32 v3, 0
	v_addc_co_u32_e32 v10, vcc, v6, v2, vcc
	s_mov_b64 s[2:3], 0
	s_mov_b64 s[8:9], 0x7f800000
	s_movk_i32 s30, 0x80
	s_mov_b64 s[12:13], 0x43e00001
	s_movk_i32 s31, 0x7a
	;; [unrolled: 2-line block ×3, first 2 shown]
	v_mov_b32_e32 v11, 0x78
	v_mov_b32_e32 v12, 0xffffff82
	s_mov_b64 s[18:19], 0
	s_branch .LBB17_655
.LBB17_654:                             ;   in Loop: Header=BB17_655 Depth=1
	s_or_b64 exec, exec, s[0:1]
	v_mov_b32_e32 v7, s19
	v_add_co_u32_e32 v6, vcc, s18, v9
	v_addc_co_u32_e32 v7, vcc, v10, v7, vcc
	s_add_u32 s18, s18, s48
	global_store_byte v[6:7], v2, off
	v_add_u32_e32 v2, s18, v1
	s_addc_u32 s19, s19, 0
	v_cmp_le_i32_e32 vcc, s28, v2
	s_or_b64 s[2:3], vcc, s[2:3]
	v_add_co_u32_e32 v4, vcc, s29, v4
	v_addc_co_u32_e32 v5, vcc, 0, v5, vcc
	s_andn2_b64 exec, exec, s[2:3]
	s_cbranch_execz .LBB17_675
.LBB17_655:                             ; =>This Inner Loop Header: Depth=1
	global_load_dword v2, v[4:5], off
	s_waitcnt vmcnt(0)
	v_div_scale_f32 v6, s[0:1], s33, s33, v2
	v_div_scale_f32 v7, vcc, v2, s33, v2
	v_rcp_f32_e32 v8, v6
	v_fma_f32 v13, -v6, v8, 1.0
	v_fmac_f32_e32 v8, v13, v8
	v_mul_f32_e32 v13, v7, v8
	v_fma_f32 v14, -v6, v13, v7
	v_fmac_f32_e32 v13, v14, v8
	v_fma_f32 v6, -v6, v13, v7
	v_div_fmas_f32 v6, v6, v8, v13
	v_div_fixup_f32 v6, v6, s33, v2
	v_and_b32_e32 v2, 0x7f800000, v6
	v_cmp_ne_u64_e32 vcc, s[8:9], v[2:3]
                                        ; implicit-def: $vgpr2
	s_and_saveexec_b64 s[0:1], vcc
	s_xor_b64 s[20:21], exec, s[0:1]
	s_cbranch_execz .LBB17_673
; %bb.656:                              ;   in Loop: Header=BB17_655 Depth=1
	v_and_b32_e32 v2, 0x7fffffff, v6
	v_cmp_gt_u64_e32 vcc, s[12:13], v[2:3]
	v_and_b32_sdwa v13, v6, s30 dst_sel:DWORD dst_unused:UNUSED_PAD src0_sel:BYTE_3 src1_sel:DWORD
                                        ; implicit-def: $vgpr2
	s_and_saveexec_b64 s[0:1], vcc
	s_xor_b64 s[22:23], exec, s[0:1]
	s_cbranch_execz .LBB17_670
; %bb.657:                              ;   in Loop: Header=BB17_655 Depth=1
	v_cmp_ne_u32_e32 vcc, 0, v6
	v_mov_b32_e32 v2, 0
	s_and_saveexec_b64 s[24:25], vcc
	s_cbranch_execz .LBB17_669
; %bb.658:                              ;   in Loop: Header=BB17_655 Depth=1
	v_bfe_u32 v14, v6, 23, 8
	v_and_b32_e32 v2, 0x7fffff, v6
	v_sub_u32_e32 v6, 0x79, v14
	v_cmp_gt_u32_e32 vcc, s31, v14
	v_cndmask_b32_e32 v6, 0, v6, vcc
	v_cmp_eq_u32_e32 vcc, 0, v14
	v_cndmask_b32_e32 v15, v6, v11, vcc
	v_add_u32_e32 v6, 20, v15
	v_or_b32_e32 v8, 0x800000, v2
	v_lshlrev_b64 v[6:7], v6, -1
	v_cndmask_b32_e32 v2, v8, v2, vcc
	v_bfi_b32 v16, v6, 0, v2
	v_add_u32_e32 v6, 19, v15
	v_bfi_b32 v17, v7, 0, 0
	v_lshlrev_b64 v[18:19], v6, 1
	v_lshrrev_b64 v[6:7], v15, v[2:3]
	v_cmp_eq_u64_e64 s[0:1], v[16:17], v[18:19]
	v_mov_b32_e32 v8, v7
	v_mov_b32_e32 v7, v6
	s_and_saveexec_b64 s[26:27], s[0:1]
; %bb.659:                              ;   in Loop: Header=BB17_655 Depth=1
	v_bfe_u32 v2, v6, 20, 1
	v_add_co_u32_e64 v2, s[0:1], v6, v2
	v_add_co_u32_e64 v7, s[0:1], -1, v2
; %bb.660:                              ;   in Loop: Header=BB17_655 Depth=1
	s_or_b64 exec, exec, s[26:27]
	v_add_u32_e32 v2, 0xffffff81, v14
	v_cndmask_b32_e32 v2, v2, v12, vcc
	v_lshrrev_b32_e32 v8, 23, v6
	v_add3_u32 v15, v15, v2, v8
	v_add_u32_e32 v14, 6, v15
	v_and_b32_e32 v2, 0xfffff, v7
	v_add_u32_e32 v2, v2, v6
	v_cmp_ne_u32_e32 vcc, 0, v14
                                        ; implicit-def: $vgpr6_vgpr7
                                        ; implicit-def: $vgpr8
	s_and_saveexec_b64 s[0:1], vcc
	s_xor_b64 s[0:1], exec, s[0:1]
; %bb.661:                              ;   in Loop: Header=BB17_655 Depth=1
	v_cmp_lt_u64_e32 vcc, s[16:17], v[2:3]
	v_add_u32_e32 v6, 7, v15
	v_cndmask_b32_e32 v8, v14, v6, vcc
	v_cndmask_b32_e64 v6, 0, 1, vcc
	v_lshrrev_b64 v[6:7], v6, v[2:3]
; %bb.662:                              ;   in Loop: Header=BB17_655 Depth=1
	s_andn2_saveexec_b64 s[0:1], s[0:1]
; %bb.663:                              ;   in Loop: Header=BB17_655 Depth=1
	v_mov_b32_e32 v7, v3
	v_bfe_u32 v8, v2, 23, 1
	v_mov_b32_e32 v6, v2
; %bb.664:                              ;   in Loop: Header=BB17_655 Depth=1
	s_or_b64 exec, exec, s[0:1]
	v_lshrrev_b64 v[6:7], 20, v[6:7]
	v_cmp_gt_i32_e32 vcc, 16, v8
	v_cndmask_b32_e32 v7, 0, v7, vcc
	v_cndmask_b32_e32 v6, 7, v6, vcc
	v_cmp_ne_u64_e32 vcc, 0, v[6:7]
	v_cmp_ne_u32_e64 s[0:1], 0, v8
	s_or_b64 s[0:1], s[0:1], vcc
                                        ; implicit-def: $vgpr2
	s_and_saveexec_b64 s[26:27], s[0:1]
	s_xor_b64 s[0:1], exec, s[26:27]
; %bb.665:                              ;   in Loop: Header=BB17_655 Depth=1
	v_min_i32_e32 v2, 15, v8
	v_lshl_or_b32 v2, v2, 3, v13
	v_and_or_b32 v2, v6, 7, v2
                                        ; implicit-def: $vgpr13
; %bb.666:                              ;   in Loop: Header=BB17_655 Depth=1
	s_andn2_saveexec_b64 s[0:1], s[0:1]
; %bb.667:                              ;   in Loop: Header=BB17_655 Depth=1
	v_mov_b32_e32 v2, v13
; %bb.668:                              ;   in Loop: Header=BB17_655 Depth=1
	s_or_b64 exec, exec, s[0:1]
.LBB17_669:                             ;   in Loop: Header=BB17_655 Depth=1
	s_or_b64 exec, exec, s[24:25]
                                        ; implicit-def: $vgpr13
.LBB17_670:                             ;   in Loop: Header=BB17_655 Depth=1
	s_andn2_saveexec_b64 s[0:1], s[22:23]
; %bb.671:                              ;   in Loop: Header=BB17_655 Depth=1
	v_or_b32_e32 v2, 0x7e, v13
; %bb.672:                              ;   in Loop: Header=BB17_655 Depth=1
	s_or_b64 exec, exec, s[0:1]
                                        ; implicit-def: $vgpr6
.LBB17_673:                             ;   in Loop: Header=BB17_655 Depth=1
	s_andn2_saveexec_b64 s[0:1], s[20:21]
	s_cbranch_execz .LBB17_654
; %bb.674:                              ;   in Loop: Header=BB17_655 Depth=1
	v_or_b32_sdwa v2, v6, s34 dst_sel:DWORD dst_unused:UNUSED_PAD src0_sel:BYTE_3 src1_sel:DWORD
	s_branch .LBB17_654
.LBB17_675:
	s_or_b64 exec, exec, s[4:5]
	s_mov_b64 s[0:1], 0
.LBB17_676:
	s_and_b64 vcc, exec, s[0:1]
	s_cbranch_vccz .LBB17_744
; %bb.677:
	s_ashr_i32 s18, s38, 2
	v_cmp_gt_i32_e32 vcc, s18, v0
	s_and_saveexec_b64 s[0:1], vcc
	s_cbranch_execz .LBB17_744
; %bb.678:
	s_add_u32 s0, s50, s52
	s_addc_u32 s1, s49, s51
	s_add_u32 s0, s14, s0
	v_lshlrev_b32_e32 v1, 2, v0
	s_addc_u32 s1, s15, s1
	s_lshl_b32 s19, s48, 2
	v_mov_b32_e32 v2, s1
	v_add_co_u32_e32 v7, vcc, s0, v1
	s_add_u32 s0, s10, s6
	v_addc_co_u32_e32 v8, vcc, 0, v2, vcc
	v_lshlrev_b32_e32 v1, 4, v0
	s_addc_u32 s1, s11, s7
	v_mov_b32_e32 v2, s1
	v_add_co_u32_e32 v1, vcc, s0, v1
	v_addc_co_u32_e32 v2, vcc, 0, v2, vcc
	v_add_co_u32_e32 v9, vcc, 8, v1
	v_mov_b32_e32 v6, 0
	v_addc_co_u32_e32 v10, vcc, 0, v2, vcc
	s_lshl_b32 s20, s48, 4
	s_mov_b64 s[2:3], 0
	s_mov_b64 s[4:5], 0x7f800000
	s_movk_i32 s21, 0x80
	s_mov_b64 s[6:7], 0x43e00001
	s_movk_i32 s22, 0x7a
	;; [unrolled: 2-line block ×3, first 2 shown]
	v_mov_b32_e32 v14, 0x78
	v_mov_b32_e32 v15, 0xffffff82
	s_branch .LBB17_680
.LBB17_679:                             ;   in Loop: Header=BB17_680 Depth=1
	s_or_b64 exec, exec, s[0:1]
	v_lshlrev_b32_e32 v1, 24, v1
	v_lshlrev_b32_e32 v2, 16, v12
	v_lshl_or_b32 v3, v11, 8, v13
	v_or3_b32 v1, v3, v2, v1
	global_store_dword v[7:8], v1, off
	v_add_co_u32_e32 v7, vcc, s19, v7
	v_add_u32_e32 v0, s48, v0
	v_addc_co_u32_e32 v8, vcc, 0, v8, vcc
	v_cmp_le_i32_e32 vcc, s18, v0
	s_or_b64 s[2:3], vcc, s[2:3]
	v_add_co_u32_e32 v9, vcc, s20, v9
	v_addc_co_u32_e32 v10, vcc, 0, v10, vcc
	s_andn2_b64 exec, exec, s[2:3]
	s_cbranch_execz .LBB17_744
.LBB17_680:                             ; =>This Inner Loop Header: Depth=1
	global_load_dwordx4 v[1:4], v[9:10], off offset:-8
	s_waitcnt vmcnt(0)
	v_div_scale_f32 v5, s[0:1], s33, s33, v1
	v_div_scale_f32 v11, vcc, v1, s33, v1
	v_rcp_f32_e32 v12, v5
	v_fma_f32 v13, -v5, v12, 1.0
	v_fmac_f32_e32 v12, v13, v12
	v_mul_f32_e32 v13, v11, v12
	v_fma_f32 v16, -v5, v13, v11
	v_fmac_f32_e32 v13, v16, v12
	v_fma_f32 v5, -v5, v13, v11
	v_div_fmas_f32 v5, v5, v12, v13
                                        ; implicit-def: $vgpr13
	v_div_fixup_f32 v11, v5, s33, v1
	v_and_b32_e32 v5, 0x7f800000, v11
	v_cmp_ne_u64_e32 vcc, s[4:5], v[5:6]
	s_and_saveexec_b64 s[0:1], vcc
	s_xor_b64 s[10:11], exec, s[0:1]
	s_cbranch_execz .LBB17_694
; %bb.681:                              ;   in Loop: Header=BB17_680 Depth=1
	v_and_b32_e32 v5, 0x7fffffff, v11
	v_cmp_gt_u64_e32 vcc, s[6:7], v[5:6]
	v_and_b32_sdwa v1, v11, s21 dst_sel:DWORD dst_unused:UNUSED_PAD src0_sel:BYTE_3 src1_sel:DWORD
                                        ; implicit-def: $vgpr13
	s_and_saveexec_b64 s[0:1], vcc
	s_xor_b64 s[12:13], exec, s[0:1]
	s_cbranch_execz .LBB17_691
; %bb.682:                              ;   in Loop: Header=BB17_680 Depth=1
	v_mov_b32_e32 v13, 0
	v_cmp_ne_u32_e32 vcc, 0, v11
	s_and_saveexec_b64 s[14:15], vcc
	s_cbranch_execz .LBB17_690
; %bb.683:                              ;   in Loop: Header=BB17_680 Depth=1
	v_bfe_u32 v16, v11, 23, 8
	v_and_b32_e32 v5, 0x7fffff, v11
	v_sub_u32_e32 v11, 0x79, v16
	v_cmp_gt_u32_e32 vcc, s22, v16
	v_cndmask_b32_e32 v11, 0, v11, vcc
	v_cmp_eq_u32_e32 vcc, 0, v16
	v_cndmask_b32_e32 v17, v11, v14, vcc
	v_add_u32_e32 v11, 20, v17
	v_or_b32_e32 v13, 0x800000, v5
	v_lshlrev_b64 v[11:12], v11, -1
	v_cndmask_b32_e32 v5, v13, v5, vcc
	v_bfi_b32 v18, v11, 0, v5
	v_add_u32_e32 v11, 19, v17
	v_bfi_b32 v19, v12, 0, 0
	v_lshlrev_b64 v[20:21], v11, 1
	v_lshrrev_b64 v[11:12], v17, v[5:6]
	v_cmp_eq_u64_e64 s[0:1], v[18:19], v[20:21]
	v_mov_b32_e32 v13, v12
	v_mov_b32_e32 v12, v11
	s_and_saveexec_b64 s[16:17], s[0:1]
; %bb.684:                              ;   in Loop: Header=BB17_680 Depth=1
	v_bfe_u32 v5, v11, 20, 1
	v_add_co_u32_e64 v5, s[0:1], v11, v5
	v_add_co_u32_e64 v12, s[0:1], -1, v5
; %bb.685:                              ;   in Loop: Header=BB17_680 Depth=1
	s_or_b64 exec, exec, s[16:17]
	v_add_u32_e32 v5, 0xffffff81, v16
	v_cndmask_b32_e32 v5, v5, v15, vcc
	v_lshrrev_b32_e32 v13, 23, v11
	v_add3_u32 v17, v17, v5, v13
	v_add_u32_e32 v16, 6, v17
	v_and_b32_e32 v5, 0xfffff, v12
	v_add_u32_e32 v5, v5, v11
	v_cmp_ne_u32_e32 vcc, 0, v16
                                        ; implicit-def: $vgpr11_vgpr12
                                        ; implicit-def: $vgpr13
	s_and_saveexec_b64 s[0:1], vcc
	s_xor_b64 s[0:1], exec, s[0:1]
; %bb.686:                              ;   in Loop: Header=BB17_680 Depth=1
	v_cmp_lt_u64_e32 vcc, s[8:9], v[5:6]
	v_add_u32_e32 v11, 7, v17
	v_cndmask_b32_e32 v13, v16, v11, vcc
	v_cndmask_b32_e64 v11, 0, 1, vcc
	v_lshrrev_b64 v[11:12], v11, v[5:6]
; %bb.687:                              ;   in Loop: Header=BB17_680 Depth=1
	s_andn2_saveexec_b64 s[0:1], s[0:1]
; %bb.688:                              ;   in Loop: Header=BB17_680 Depth=1
	v_mov_b32_e32 v12, v6
	v_bfe_u32 v13, v5, 23, 1
	v_mov_b32_e32 v11, v5
; %bb.689:                              ;   in Loop: Header=BB17_680 Depth=1
	s_or_b64 exec, exec, s[0:1]
	v_lshrrev_b64 v[11:12], 20, v[11:12]
	v_cmp_gt_i32_e32 vcc, 16, v13
	v_cndmask_b32_e32 v12, 0, v12, vcc
	v_cndmask_b32_e32 v11, 7, v11, vcc
	v_min_i32_e32 v5, 15, v13
	v_cmp_eq_u64_e64 s[0:1], 0, v[11:12]
	v_lshlrev_b32_e32 v5, 3, v5
	v_cmp_eq_u32_e32 vcc, 0, v13
	v_and_b32_e32 v5, 0xf8, v5
	v_and_or_b32 v5, v11, 7, v5
	s_and_b64 s[0:1], vcc, s[0:1]
	v_cndmask_b32_e64 v5, v5, 0, s[0:1]
	v_or_b32_e32 v13, v5, v1
.LBB17_690:                             ;   in Loop: Header=BB17_680 Depth=1
	s_or_b64 exec, exec, s[14:15]
                                        ; implicit-def: $vgpr1
.LBB17_691:                             ;   in Loop: Header=BB17_680 Depth=1
	s_andn2_saveexec_b64 s[0:1], s[12:13]
; %bb.692:                              ;   in Loop: Header=BB17_680 Depth=1
	v_or_b32_e32 v13, 0x7e, v1
; %bb.693:                              ;   in Loop: Header=BB17_680 Depth=1
	s_or_b64 exec, exec, s[0:1]
                                        ; implicit-def: $vgpr11
.LBB17_694:                             ;   in Loop: Header=BB17_680 Depth=1
	s_andn2_saveexec_b64 s[0:1], s[10:11]
; %bb.695:                              ;   in Loop: Header=BB17_680 Depth=1
	v_or_b32_sdwa v13, v11, s23 dst_sel:DWORD dst_unused:UNUSED_PAD src0_sel:BYTE_3 src1_sel:DWORD
; %bb.696:                              ;   in Loop: Header=BB17_680 Depth=1
	s_or_b64 exec, exec, s[0:1]
	v_div_scale_f32 v1, s[0:1], s33, s33, v2
	v_div_scale_f32 v5, vcc, v2, s33, v2
	v_rcp_f32_e32 v11, v1
	v_fma_f32 v12, -v1, v11, 1.0
	v_fmac_f32_e32 v11, v12, v11
	v_mul_f32_e32 v12, v5, v11
	v_fma_f32 v16, -v1, v12, v5
	v_fmac_f32_e32 v12, v16, v11
	v_fma_f32 v1, -v1, v12, v5
	v_div_fmas_f32 v1, v1, v11, v12
                                        ; implicit-def: $vgpr11
	v_div_fixup_f32 v1, v1, s33, v2
	v_and_b32_e32 v5, 0x7f800000, v1
	v_cmp_ne_u64_e32 vcc, s[4:5], v[5:6]
	s_and_saveexec_b64 s[0:1], vcc
	s_xor_b64 s[10:11], exec, s[0:1]
	s_cbranch_execz .LBB17_710
; %bb.697:                              ;   in Loop: Header=BB17_680 Depth=1
	v_and_b32_e32 v5, 0x7fffffff, v1
	v_cmp_gt_u64_e32 vcc, s[6:7], v[5:6]
	v_and_b32_sdwa v16, v1, s21 dst_sel:DWORD dst_unused:UNUSED_PAD src0_sel:BYTE_3 src1_sel:DWORD
                                        ; implicit-def: $vgpr11
	s_and_saveexec_b64 s[0:1], vcc
	s_xor_b64 s[12:13], exec, s[0:1]
	s_cbranch_execz .LBB17_707
; %bb.698:                              ;   in Loop: Header=BB17_680 Depth=1
	v_mov_b32_e32 v11, 0
	v_cmp_ne_u32_e32 vcc, 0, v1
	s_and_saveexec_b64 s[14:15], vcc
	s_cbranch_execz .LBB17_706
; %bb.699:                              ;   in Loop: Header=BB17_680 Depth=1
	v_bfe_u32 v17, v1, 23, 8
	v_and_b32_e32 v5, 0x7fffff, v1
	v_sub_u32_e32 v1, 0x79, v17
	v_cmp_gt_u32_e32 vcc, s22, v17
	v_cndmask_b32_e32 v1, 0, v1, vcc
	v_cmp_eq_u32_e32 vcc, 0, v17
	v_cndmask_b32_e32 v18, v1, v14, vcc
	v_add_u32_e32 v1, 20, v18
	v_or_b32_e32 v11, 0x800000, v5
	v_lshlrev_b64 v[1:2], v1, -1
	v_cndmask_b32_e32 v5, v11, v5, vcc
	v_bfi_b32 v11, v1, 0, v5
	v_add_u32_e32 v1, 19, v18
	v_bfi_b32 v12, v2, 0, 0
	v_lshlrev_b64 v[19:20], v1, 1
	v_lshrrev_b64 v[1:2], v18, v[5:6]
	v_cmp_eq_u64_e64 s[0:1], v[11:12], v[19:20]
	v_mov_b32_e32 v12, v2
	v_mov_b32_e32 v11, v1
	s_and_saveexec_b64 s[16:17], s[0:1]
; %bb.700:                              ;   in Loop: Header=BB17_680 Depth=1
	v_bfe_u32 v2, v1, 20, 1
	v_add_co_u32_e64 v2, s[0:1], v1, v2
	v_add_co_u32_e64 v11, s[0:1], -1, v2
; %bb.701:                              ;   in Loop: Header=BB17_680 Depth=1
	s_or_b64 exec, exec, s[16:17]
	v_add_u32_e32 v2, 0xffffff81, v17
	v_cndmask_b32_e32 v2, v2, v15, vcc
	v_lshrrev_b32_e32 v5, 23, v1
	v_add3_u32 v17, v18, v2, v5
	v_add_u32_e32 v12, 6, v17
	v_and_b32_e32 v2, 0xfffff, v11
	v_add_u32_e32 v5, v2, v1
	v_cmp_ne_u32_e32 vcc, 0, v12
                                        ; implicit-def: $vgpr1_vgpr2
                                        ; implicit-def: $vgpr11
	s_and_saveexec_b64 s[0:1], vcc
	s_xor_b64 s[0:1], exec, s[0:1]
; %bb.702:                              ;   in Loop: Header=BB17_680 Depth=1
	v_cmp_lt_u64_e32 vcc, s[8:9], v[5:6]
	v_add_u32_e32 v1, 7, v17
	v_cndmask_b32_e32 v11, v12, v1, vcc
	v_cndmask_b32_e64 v1, 0, 1, vcc
	v_lshrrev_b64 v[1:2], v1, v[5:6]
; %bb.703:                              ;   in Loop: Header=BB17_680 Depth=1
	s_andn2_saveexec_b64 s[0:1], s[0:1]
; %bb.704:                              ;   in Loop: Header=BB17_680 Depth=1
	v_mov_b32_e32 v1, v5
	v_bfe_u32 v11, v5, 23, 1
	v_mov_b32_e32 v2, v6
; %bb.705:                              ;   in Loop: Header=BB17_680 Depth=1
	s_or_b64 exec, exec, s[0:1]
	v_lshrrev_b64 v[1:2], 20, v[1:2]
	v_cmp_gt_i32_e32 vcc, 16, v11
	v_cndmask_b32_e32 v2, 0, v2, vcc
	v_cndmask_b32_e32 v1, 7, v1, vcc
	v_cmp_eq_u64_e64 s[0:1], 0, v[1:2]
	v_min_i32_e32 v2, 15, v11
	v_lshlrev_b32_e32 v2, 3, v2
	v_cmp_eq_u32_e32 vcc, 0, v11
	v_and_b32_e32 v2, 0xf8, v2
	v_and_or_b32 v1, v1, 7, v2
	s_and_b64 s[0:1], vcc, s[0:1]
	v_cndmask_b32_e64 v1, v1, 0, s[0:1]
	v_or_b32_e32 v11, v1, v16
.LBB17_706:                             ;   in Loop: Header=BB17_680 Depth=1
	s_or_b64 exec, exec, s[14:15]
                                        ; implicit-def: $vgpr16
.LBB17_707:                             ;   in Loop: Header=BB17_680 Depth=1
	s_andn2_saveexec_b64 s[0:1], s[12:13]
; %bb.708:                              ;   in Loop: Header=BB17_680 Depth=1
	v_or_b32_e32 v11, 0x7e, v16
; %bb.709:                              ;   in Loop: Header=BB17_680 Depth=1
	s_or_b64 exec, exec, s[0:1]
                                        ; implicit-def: $vgpr1
.LBB17_710:                             ;   in Loop: Header=BB17_680 Depth=1
	s_andn2_saveexec_b64 s[0:1], s[10:11]
; %bb.711:                              ;   in Loop: Header=BB17_680 Depth=1
	v_or_b32_sdwa v11, v1, s23 dst_sel:DWORD dst_unused:UNUSED_PAD src0_sel:BYTE_3 src1_sel:DWORD
; %bb.712:                              ;   in Loop: Header=BB17_680 Depth=1
	s_or_b64 exec, exec, s[0:1]
	v_div_scale_f32 v1, s[0:1], s33, s33, v3
	v_div_scale_f32 v2, vcc, v3, s33, v3
	v_rcp_f32_e32 v5, v1
	v_fma_f32 v12, -v1, v5, 1.0
	v_fmac_f32_e32 v5, v12, v5
	v_mul_f32_e32 v12, v2, v5
	v_fma_f32 v16, -v1, v12, v2
	v_fmac_f32_e32 v12, v16, v5
	v_fma_f32 v1, -v1, v12, v2
	v_div_fmas_f32 v1, v1, v5, v12
                                        ; implicit-def: $vgpr12
	v_div_fixup_f32 v1, v1, s33, v3
	v_and_b32_e32 v5, 0x7f800000, v1
	v_cmp_ne_u64_e32 vcc, s[4:5], v[5:6]
	s_and_saveexec_b64 s[0:1], vcc
	s_xor_b64 s[10:11], exec, s[0:1]
	s_cbranch_execz .LBB17_726
; %bb.713:                              ;   in Loop: Header=BB17_680 Depth=1
	v_and_b32_e32 v5, 0x7fffffff, v1
	v_cmp_gt_u64_e32 vcc, s[6:7], v[5:6]
	v_and_b32_sdwa v16, v1, s21 dst_sel:DWORD dst_unused:UNUSED_PAD src0_sel:BYTE_3 src1_sel:DWORD
                                        ; implicit-def: $vgpr12
	s_and_saveexec_b64 s[0:1], vcc
	s_xor_b64 s[12:13], exec, s[0:1]
	s_cbranch_execz .LBB17_723
; %bb.714:                              ;   in Loop: Header=BB17_680 Depth=1
	v_mov_b32_e32 v12, 0
	v_cmp_ne_u32_e32 vcc, 0, v1
	s_and_saveexec_b64 s[14:15], vcc
	s_cbranch_execz .LBB17_722
; %bb.715:                              ;   in Loop: Header=BB17_680 Depth=1
	v_bfe_u32 v12, v1, 23, 8
	v_and_b32_e32 v3, 0x7fffff, v1
	v_sub_u32_e32 v1, 0x79, v12
	v_cmp_gt_u32_e32 vcc, s22, v12
	v_cndmask_b32_e32 v1, 0, v1, vcc
	v_cmp_eq_u32_e32 vcc, 0, v12
	v_cndmask_b32_e32 v17, v1, v14, vcc
	v_add_u32_e32 v1, 20, v17
	v_or_b32_e32 v5, 0x800000, v3
	v_lshlrev_b64 v[1:2], v1, -1
	v_cndmask_b32_e32 v5, v5, v3, vcc
	v_bfi_b32 v18, v1, 0, v5
	v_add_u32_e32 v1, 19, v17
	v_bfi_b32 v19, v2, 0, 0
	v_lshlrev_b64 v[20:21], v1, 1
	v_lshrrev_b64 v[1:2], v17, v[5:6]
	v_cmp_eq_u64_e64 s[0:1], v[18:19], v[20:21]
	v_mov_b32_e32 v3, v2
	v_mov_b32_e32 v2, v1
	s_and_saveexec_b64 s[16:17], s[0:1]
; %bb.716:                              ;   in Loop: Header=BB17_680 Depth=1
	v_bfe_u32 v2, v1, 20, 1
	v_add_co_u32_e64 v2, s[0:1], v1, v2
	v_add_co_u32_e64 v2, s[0:1], -1, v2
; %bb.717:                              ;   in Loop: Header=BB17_680 Depth=1
	s_or_b64 exec, exec, s[16:17]
	v_add_u32_e32 v3, 0xffffff81, v12
	v_cndmask_b32_e32 v3, v3, v15, vcc
	v_lshrrev_b32_e32 v5, 23, v1
	v_add3_u32 v17, v17, v3, v5
	v_add_u32_e32 v12, 6, v17
	v_and_b32_e32 v2, 0xfffff, v2
	v_add_u32_e32 v5, v2, v1
	v_cmp_ne_u32_e32 vcc, 0, v12
                                        ; implicit-def: $vgpr1_vgpr2
                                        ; implicit-def: $vgpr3
	s_and_saveexec_b64 s[0:1], vcc
	s_xor_b64 s[0:1], exec, s[0:1]
; %bb.718:                              ;   in Loop: Header=BB17_680 Depth=1
	v_cmp_lt_u64_e32 vcc, s[8:9], v[5:6]
	v_add_u32_e32 v1, 7, v17
	v_cndmask_b32_e32 v3, v12, v1, vcc
	v_cndmask_b32_e64 v1, 0, 1, vcc
	v_lshrrev_b64 v[1:2], v1, v[5:6]
; %bb.719:                              ;   in Loop: Header=BB17_680 Depth=1
	s_andn2_saveexec_b64 s[0:1], s[0:1]
; %bb.720:                              ;   in Loop: Header=BB17_680 Depth=1
	v_mov_b32_e32 v1, v5
	v_bfe_u32 v3, v5, 23, 1
	v_mov_b32_e32 v2, v6
; %bb.721:                              ;   in Loop: Header=BB17_680 Depth=1
	s_or_b64 exec, exec, s[0:1]
	v_lshrrev_b64 v[1:2], 20, v[1:2]
	v_cmp_gt_i32_e32 vcc, 16, v3
	v_cndmask_b32_e32 v2, 0, v2, vcc
	v_cndmask_b32_e32 v1, 7, v1, vcc
	v_cmp_eq_u64_e64 s[0:1], 0, v[1:2]
	v_min_i32_e32 v2, 15, v3
	v_lshlrev_b32_e32 v2, 3, v2
	v_cmp_eq_u32_e32 vcc, 0, v3
	v_and_b32_e32 v2, 0xf8, v2
	v_and_or_b32 v1, v1, 7, v2
	s_and_b64 s[0:1], vcc, s[0:1]
	v_cndmask_b32_e64 v1, v1, 0, s[0:1]
	v_or_b32_e32 v12, v1, v16
.LBB17_722:                             ;   in Loop: Header=BB17_680 Depth=1
	s_or_b64 exec, exec, s[14:15]
                                        ; implicit-def: $vgpr16
.LBB17_723:                             ;   in Loop: Header=BB17_680 Depth=1
	s_andn2_saveexec_b64 s[0:1], s[12:13]
; %bb.724:                              ;   in Loop: Header=BB17_680 Depth=1
	v_or_b32_e32 v12, 0x7e, v16
; %bb.725:                              ;   in Loop: Header=BB17_680 Depth=1
	s_or_b64 exec, exec, s[0:1]
                                        ; implicit-def: $vgpr1
.LBB17_726:                             ;   in Loop: Header=BB17_680 Depth=1
	s_andn2_saveexec_b64 s[0:1], s[10:11]
; %bb.727:                              ;   in Loop: Header=BB17_680 Depth=1
	v_or_b32_sdwa v12, v1, s23 dst_sel:DWORD dst_unused:UNUSED_PAD src0_sel:BYTE_3 src1_sel:DWORD
; %bb.728:                              ;   in Loop: Header=BB17_680 Depth=1
	s_or_b64 exec, exec, s[0:1]
	v_div_scale_f32 v1, s[0:1], s33, s33, v4
	v_div_scale_f32 v2, vcc, v4, s33, v4
	v_rcp_f32_e32 v3, v1
	v_fma_f32 v5, -v1, v3, 1.0
	v_fmac_f32_e32 v3, v5, v3
	v_mul_f32_e32 v5, v2, v3
	v_fma_f32 v16, -v1, v5, v2
	v_fmac_f32_e32 v5, v16, v3
	v_fma_f32 v1, -v1, v5, v2
	v_div_fmas_f32 v1, v1, v3, v5
	v_div_fixup_f32 v2, v1, s33, v4
	v_and_b32_e32 v5, 0x7f800000, v2
	v_cmp_ne_u64_e32 vcc, s[4:5], v[5:6]
                                        ; implicit-def: $vgpr1
	s_and_saveexec_b64 s[0:1], vcc
	s_xor_b64 s[10:11], exec, s[0:1]
	s_cbranch_execz .LBB17_742
; %bb.729:                              ;   in Loop: Header=BB17_680 Depth=1
	v_and_b32_e32 v5, 0x7fffffff, v2
	v_cmp_gt_u64_e32 vcc, s[6:7], v[5:6]
	v_and_b32_sdwa v4, v2, s21 dst_sel:DWORD dst_unused:UNUSED_PAD src0_sel:BYTE_3 src1_sel:DWORD
                                        ; implicit-def: $vgpr1
	s_and_saveexec_b64 s[0:1], vcc
	s_xor_b64 s[12:13], exec, s[0:1]
	s_cbranch_execz .LBB17_739
; %bb.730:                              ;   in Loop: Header=BB17_680 Depth=1
	v_mov_b32_e32 v1, 0
	v_cmp_ne_u32_e32 vcc, 0, v2
	s_and_saveexec_b64 s[14:15], vcc
	s_cbranch_execz .LBB17_738
; %bb.731:                              ;   in Loop: Header=BB17_680 Depth=1
	v_bfe_u32 v16, v2, 23, 8
	v_sub_u32_e32 v1, 0x79, v16
	v_cmp_gt_u32_e32 vcc, s22, v16
	v_cndmask_b32_e32 v1, 0, v1, vcc
	v_cmp_eq_u32_e32 vcc, 0, v16
	v_cndmask_b32_e32 v17, v1, v14, vcc
	v_and_b32_e32 v3, 0x7fffff, v2
	v_add_u32_e32 v1, 20, v17
	v_or_b32_e32 v5, 0x800000, v3
	v_lshlrev_b64 v[1:2], v1, -1
	v_cndmask_b32_e32 v5, v5, v3, vcc
	v_bfi_b32 v18, v1, 0, v5
	v_add_u32_e32 v1, 19, v17
	v_bfi_b32 v19, v2, 0, 0
	v_lshlrev_b64 v[20:21], v1, 1
	v_lshrrev_b64 v[1:2], v17, v[5:6]
	v_cmp_eq_u64_e64 s[0:1], v[18:19], v[20:21]
	v_mov_b32_e32 v3, v2
	v_mov_b32_e32 v2, v1
	s_and_saveexec_b64 s[16:17], s[0:1]
; %bb.732:                              ;   in Loop: Header=BB17_680 Depth=1
	v_bfe_u32 v2, v1, 20, 1
	v_add_co_u32_e64 v2, s[0:1], v1, v2
	v_add_co_u32_e64 v2, s[0:1], -1, v2
; %bb.733:                              ;   in Loop: Header=BB17_680 Depth=1
	s_or_b64 exec, exec, s[16:17]
	v_add_u32_e32 v3, 0xffffff81, v16
	v_cndmask_b32_e32 v3, v3, v15, vcc
	v_lshrrev_b32_e32 v5, 23, v1
	v_add3_u32 v17, v17, v3, v5
	v_add_u32_e32 v16, 6, v17
	v_and_b32_e32 v2, 0xfffff, v2
	v_add_u32_e32 v5, v2, v1
	v_cmp_ne_u32_e32 vcc, 0, v16
                                        ; implicit-def: $vgpr1_vgpr2
                                        ; implicit-def: $vgpr3
	s_and_saveexec_b64 s[0:1], vcc
	s_xor_b64 s[0:1], exec, s[0:1]
; %bb.734:                              ;   in Loop: Header=BB17_680 Depth=1
	v_cmp_lt_u64_e32 vcc, s[8:9], v[5:6]
	v_add_u32_e32 v1, 7, v17
	v_cndmask_b32_e32 v3, v16, v1, vcc
	v_cndmask_b32_e64 v1, 0, 1, vcc
	v_lshrrev_b64 v[1:2], v1, v[5:6]
; %bb.735:                              ;   in Loop: Header=BB17_680 Depth=1
	s_andn2_saveexec_b64 s[0:1], s[0:1]
; %bb.736:                              ;   in Loop: Header=BB17_680 Depth=1
	v_mov_b32_e32 v1, v5
	v_bfe_u32 v3, v5, 23, 1
	v_mov_b32_e32 v2, v6
; %bb.737:                              ;   in Loop: Header=BB17_680 Depth=1
	s_or_b64 exec, exec, s[0:1]
	v_lshrrev_b64 v[1:2], 20, v[1:2]
	v_cmp_gt_i32_e32 vcc, 16, v3
	v_cndmask_b32_e32 v2, 0, v2, vcc
	v_cndmask_b32_e32 v1, 7, v1, vcc
	v_cmp_eq_u64_e64 s[0:1], 0, v[1:2]
	v_min_i32_e32 v2, 15, v3
	v_lshlrev_b32_e32 v2, 3, v2
	v_cmp_eq_u32_e32 vcc, 0, v3
	v_and_b32_e32 v2, 0xf8, v2
	v_and_or_b32 v1, v1, 7, v2
	s_and_b64 s[0:1], vcc, s[0:1]
	v_cndmask_b32_e64 v1, v1, 0, s[0:1]
	v_or_b32_e32 v1, v1, v4
.LBB17_738:                             ;   in Loop: Header=BB17_680 Depth=1
	s_or_b64 exec, exec, s[14:15]
                                        ; implicit-def: $vgpr4
.LBB17_739:                             ;   in Loop: Header=BB17_680 Depth=1
	s_andn2_saveexec_b64 s[0:1], s[12:13]
; %bb.740:                              ;   in Loop: Header=BB17_680 Depth=1
	v_or_b32_e32 v1, 0x7e, v4
; %bb.741:                              ;   in Loop: Header=BB17_680 Depth=1
	s_or_b64 exec, exec, s[0:1]
                                        ; implicit-def: $vgpr2
.LBB17_742:                             ;   in Loop: Header=BB17_680 Depth=1
	s_andn2_saveexec_b64 s[0:1], s[10:11]
	s_cbranch_execz .LBB17_679
; %bb.743:                              ;   in Loop: Header=BB17_680 Depth=1
	v_or_b32_sdwa v1, v2, s23 dst_sel:DWORD dst_unused:UNUSED_PAD src0_sel:BYTE_3 src1_sel:DWORD
	s_branch .LBB17_679
.LBB17_744:
	s_endpgm
	.section	.rodata,"a",@progbits
	.p2align	6, 0x0
	.amdhsa_kernel _ZN4vllm30reshape_and_cache_flash_kernelIfhLNS_18Fp8KVCacheDataTypeE1EEEvPKT_S4_PT0_S6_PKlllllliiiPKfSA_
		.amdhsa_group_segment_fixed_size 0
		.amdhsa_private_segment_fixed_size 0
		.amdhsa_kernarg_size 368
		.amdhsa_user_sgpr_count 6
		.amdhsa_user_sgpr_private_segment_buffer 1
		.amdhsa_user_sgpr_dispatch_ptr 0
		.amdhsa_user_sgpr_queue_ptr 0
		.amdhsa_user_sgpr_kernarg_segment_ptr 1
		.amdhsa_user_sgpr_dispatch_id 0
		.amdhsa_user_sgpr_flat_scratch_init 0
		.amdhsa_user_sgpr_private_segment_size 0
		.amdhsa_uses_dynamic_stack 0
		.amdhsa_system_sgpr_private_segment_wavefront_offset 0
		.amdhsa_system_sgpr_workgroup_id_x 1
		.amdhsa_system_sgpr_workgroup_id_y 0
		.amdhsa_system_sgpr_workgroup_id_z 0
		.amdhsa_system_sgpr_workgroup_info 0
		.amdhsa_system_vgpr_workitem_id 0
		.amdhsa_next_free_vgpr 54
		.amdhsa_next_free_sgpr 74
		.amdhsa_reserve_vcc 1
		.amdhsa_reserve_flat_scratch 0
		.amdhsa_float_round_mode_32 0
		.amdhsa_float_round_mode_16_64 0
		.amdhsa_float_denorm_mode_32 3
		.amdhsa_float_denorm_mode_16_64 3
		.amdhsa_dx10_clamp 1
		.amdhsa_ieee_mode 1
		.amdhsa_fp16_overflow 0
		.amdhsa_exception_fp_ieee_invalid_op 0
		.amdhsa_exception_fp_denorm_src 0
		.amdhsa_exception_fp_ieee_div_zero 0
		.amdhsa_exception_fp_ieee_overflow 0
		.amdhsa_exception_fp_ieee_underflow 0
		.amdhsa_exception_fp_ieee_inexact 0
		.amdhsa_exception_int_div_zero 0
	.end_amdhsa_kernel
	.section	.text._ZN4vllm30reshape_and_cache_flash_kernelIfhLNS_18Fp8KVCacheDataTypeE1EEEvPKT_S4_PT0_S6_PKlllllliiiPKfSA_,"axG",@progbits,_ZN4vllm30reshape_and_cache_flash_kernelIfhLNS_18Fp8KVCacheDataTypeE1EEEvPKT_S4_PT0_S6_PKlllllliiiPKfSA_,comdat
.Lfunc_end17:
	.size	_ZN4vllm30reshape_and_cache_flash_kernelIfhLNS_18Fp8KVCacheDataTypeE1EEEvPKT_S4_PT0_S6_PKlllllliiiPKfSA_, .Lfunc_end17-_ZN4vllm30reshape_and_cache_flash_kernelIfhLNS_18Fp8KVCacheDataTypeE1EEEvPKT_S4_PT0_S6_PKlllllliiiPKfSA_
                                        ; -- End function
	.set _ZN4vllm30reshape_and_cache_flash_kernelIfhLNS_18Fp8KVCacheDataTypeE1EEEvPKT_S4_PT0_S6_PKlllllliiiPKfSA_.num_vgpr, 54
	.set _ZN4vllm30reshape_and_cache_flash_kernelIfhLNS_18Fp8KVCacheDataTypeE1EEEvPKT_S4_PT0_S6_PKlllllliiiPKfSA_.num_agpr, 0
	.set _ZN4vllm30reshape_and_cache_flash_kernelIfhLNS_18Fp8KVCacheDataTypeE1EEEvPKT_S4_PT0_S6_PKlllllliiiPKfSA_.numbered_sgpr, 74
	.set _ZN4vllm30reshape_and_cache_flash_kernelIfhLNS_18Fp8KVCacheDataTypeE1EEEvPKT_S4_PT0_S6_PKlllllliiiPKfSA_.num_named_barrier, 0
	.set _ZN4vllm30reshape_and_cache_flash_kernelIfhLNS_18Fp8KVCacheDataTypeE1EEEvPKT_S4_PT0_S6_PKlllllliiiPKfSA_.private_seg_size, 0
	.set _ZN4vllm30reshape_and_cache_flash_kernelIfhLNS_18Fp8KVCacheDataTypeE1EEEvPKT_S4_PT0_S6_PKlllllliiiPKfSA_.uses_vcc, 1
	.set _ZN4vllm30reshape_and_cache_flash_kernelIfhLNS_18Fp8KVCacheDataTypeE1EEEvPKT_S4_PT0_S6_PKlllllliiiPKfSA_.uses_flat_scratch, 0
	.set _ZN4vllm30reshape_and_cache_flash_kernelIfhLNS_18Fp8KVCacheDataTypeE1EEEvPKT_S4_PT0_S6_PKlllllliiiPKfSA_.has_dyn_sized_stack, 0
	.set _ZN4vllm30reshape_and_cache_flash_kernelIfhLNS_18Fp8KVCacheDataTypeE1EEEvPKT_S4_PT0_S6_PKlllllliiiPKfSA_.has_recursion, 0
	.set _ZN4vllm30reshape_and_cache_flash_kernelIfhLNS_18Fp8KVCacheDataTypeE1EEEvPKT_S4_PT0_S6_PKlllllliiiPKfSA_.has_indirect_call, 0
	.section	.AMDGPU.csdata,"",@progbits
; Kernel info:
; codeLenInByte = 24928
; TotalNumSgprs: 78
; NumVgprs: 54
; ScratchSize: 0
; MemoryBound: 0
; FloatMode: 240
; IeeeMode: 1
; LDSByteSize: 0 bytes/workgroup (compile time only)
; SGPRBlocks: 9
; VGPRBlocks: 13
; NumSGPRsForWavesPerEU: 78
; NumVGPRsForWavesPerEU: 54
; Occupancy: 4
; WaveLimiterHint : 1
; COMPUTE_PGM_RSRC2:SCRATCH_EN: 0
; COMPUTE_PGM_RSRC2:USER_SGPR: 6
; COMPUTE_PGM_RSRC2:TRAP_HANDLER: 0
; COMPUTE_PGM_RSRC2:TGID_X_EN: 1
; COMPUTE_PGM_RSRC2:TGID_Y_EN: 0
; COMPUTE_PGM_RSRC2:TGID_Z_EN: 0
; COMPUTE_PGM_RSRC2:TIDIG_COMP_CNT: 0
	.section	.text._ZN4vllm30reshape_and_cache_flash_kernelIthLNS_18Fp8KVCacheDataTypeE1EEEvPKT_S4_PT0_S6_PKlllllliiiPKfSA_,"axG",@progbits,_ZN4vllm30reshape_and_cache_flash_kernelIthLNS_18Fp8KVCacheDataTypeE1EEEvPKT_S4_PT0_S6_PKlllllliiiPKfSA_,comdat
	.protected	_ZN4vllm30reshape_and_cache_flash_kernelIthLNS_18Fp8KVCacheDataTypeE1EEEvPKT_S4_PT0_S6_PKlllllliiiPKfSA_ ; -- Begin function _ZN4vllm30reshape_and_cache_flash_kernelIthLNS_18Fp8KVCacheDataTypeE1EEEvPKT_S4_PT0_S6_PKlllllliiiPKfSA_
	.globl	_ZN4vllm30reshape_and_cache_flash_kernelIthLNS_18Fp8KVCacheDataTypeE1EEEvPKT_S4_PT0_S6_PKlllllliiiPKfSA_
	.p2align	8
	.type	_ZN4vllm30reshape_and_cache_flash_kernelIthLNS_18Fp8KVCacheDataTypeE1EEEvPKT_S4_PT0_S6_PKlllllliiiPKfSA_,@function
_ZN4vllm30reshape_and_cache_flash_kernelIthLNS_18Fp8KVCacheDataTypeE1EEEvPKT_S4_PT0_S6_PKlllllliiiPKfSA_: ; @_ZN4vllm30reshape_and_cache_flash_kernelIthLNS_18Fp8KVCacheDataTypeE1EEEvPKT_S4_PT0_S6_PKlllllliiiPKfSA_
; %bb.0:
	s_mov_b64 s[98:99], s[2:3]
	s_mov_b64 s[96:97], s[0:1]
	s_load_dwordx2 s[0:1], s[4:5], 0x20
	s_add_u32 s96, s96, s7
	s_mov_b32 s7, 0
	s_addc_u32 s97, s97, 0
	s_lshl_b64 s[2:3], s[6:7], 3
	s_waitcnt lgkmcnt(0)
	s_add_u32 s0, s0, s2
	s_addc_u32 s1, s1, s3
	s_load_dwordx2 s[8:9], s[0:1], 0x0
	s_waitcnt lgkmcnt(0)
	v_cmp_lt_i64_e64 s[0:1], s[8:9], 0
	s_and_b64 vcc, exec, s[0:1]
	s_cbranch_vccnz .LBB18_1404
; %bb.1:
	s_load_dwordx4 s[44:47], s[4:5], 0x50
	s_load_dwordx8 s[24:31], s[4:5], 0x0
	s_waitcnt lgkmcnt(0)
	s_ashr_i32 s47, s46, 31
	s_or_b64 s[0:1], s[8:9], s[46:47]
	s_mov_b32 s0, s7
	s_cmp_lg_u64 s[0:1], 0
	s_cbranch_scc0 .LBB18_730
; %bb.2:
	s_ashr_i32 s0, s47, 31
	s_add_u32 s2, s46, s0
	s_mov_b32 s1, s0
	s_addc_u32 s3, s47, s0
	s_xor_b64 s[10:11], s[2:3], s[0:1]
	v_cvt_f32_u32_e32 v1, s10
	v_cvt_f32_u32_e32 v2, s11
	s_sub_u32 s7, 0, s10
	s_subb_u32 s14, 0, s11
	v_madmk_f32 v1, v2, 0x4f800000, v1
	v_rcp_f32_e32 v1, v1
	v_mul_f32_e32 v1, 0x5f7ffffc, v1
	v_mul_f32_e32 v2, 0x2f800000, v1
	v_trunc_f32_e32 v2, v2
	v_madmk_f32 v1, v2, 0xcf800000, v1
	v_cvt_u32_f32_e32 v2, v2
	v_cvt_u32_f32_e32 v1, v1
	v_readfirstlane_b32 s15, v2
	v_readfirstlane_b32 s12, v1
	s_mul_i32 s13, s7, s15
	s_mul_hi_u32 s17, s7, s12
	s_mul_i32 s16, s14, s12
	s_add_i32 s13, s17, s13
	s_add_i32 s13, s13, s16
	s_mul_i32 s18, s7, s12
	s_mul_i32 s17, s12, s13
	s_mul_hi_u32 s19, s12, s18
	s_mul_hi_u32 s16, s12, s13
	s_add_u32 s17, s19, s17
	s_addc_u32 s16, 0, s16
	s_mul_hi_u32 s20, s15, s18
	s_mul_i32 s18, s15, s18
	s_add_u32 s17, s17, s18
	s_mul_hi_u32 s19, s15, s13
	s_addc_u32 s16, s16, s20
	s_addc_u32 s17, s19, 0
	s_mul_i32 s13, s15, s13
	s_add_u32 s13, s16, s13
	s_addc_u32 s16, 0, s17
	s_add_u32 s17, s12, s13
	s_cselect_b64 s[12:13], -1, 0
	s_cmp_lg_u64 s[12:13], 0
	s_addc_u32 s15, s15, s16
	s_mul_i32 s12, s7, s15
	s_mul_hi_u32 s13, s7, s17
	s_add_i32 s12, s13, s12
	s_mul_i32 s14, s14, s17
	s_add_i32 s12, s12, s14
	s_mul_i32 s7, s7, s17
	s_mul_hi_u32 s14, s15, s7
	s_mul_i32 s16, s15, s7
	s_mul_i32 s19, s17, s12
	s_mul_hi_u32 s7, s17, s7
	s_mul_hi_u32 s18, s17, s12
	s_add_u32 s7, s7, s19
	s_addc_u32 s18, 0, s18
	s_add_u32 s7, s7, s16
	s_mul_hi_u32 s13, s15, s12
	s_addc_u32 s7, s18, s14
	s_addc_u32 s13, s13, 0
	s_mul_i32 s12, s15, s12
	s_add_u32 s7, s7, s12
	s_addc_u32 s14, 0, s13
	s_add_u32 s7, s17, s7
	s_cselect_b64 s[12:13], -1, 0
	s_cmp_lg_u64 s[12:13], 0
	s_addc_u32 s16, s15, s14
	s_ashr_i32 s12, s9, 31
	s_add_u32 s14, s8, s12
	s_mov_b32 s13, s12
	s_addc_u32 s15, s9, s12
	s_xor_b64 s[14:15], s[14:15], s[12:13]
	s_mul_i32 s18, s14, s16
	s_mul_hi_u32 s19, s14, s7
	s_mul_hi_u32 s17, s14, s16
	s_add_u32 s18, s19, s18
	s_addc_u32 s17, 0, s17
	s_mul_hi_u32 s20, s15, s7
	s_mul_i32 s7, s15, s7
	s_add_u32 s7, s18, s7
	s_mul_hi_u32 s19, s15, s16
	s_addc_u32 s7, s17, s20
	s_addc_u32 s17, s19, 0
	s_mul_i32 s16, s15, s16
	s_add_u32 s7, s7, s16
	s_addc_u32 s20, 0, s17
	s_mul_i32 s16, s10, s20
	s_mul_hi_u32 s17, s10, s7
	s_add_i32 s16, s17, s16
	s_mul_i32 s17, s11, s7
	s_add_i32 s21, s16, s17
	s_sub_i32 s18, s15, s21
	s_mul_i32 s16, s10, s7
	s_sub_u32 s14, s14, s16
	s_cselect_b64 s[16:17], -1, 0
	s_cmp_lg_u64 s[16:17], 0
	s_subb_u32 s22, s18, s11
	s_sub_u32 s23, s14, s10
	s_cselect_b64 s[18:19], -1, 0
	s_cmp_lg_u64 s[18:19], 0
	s_subb_u32 s18, s22, 0
	s_cmp_ge_u32 s18, s11
	s_cselect_b32 s19, -1, 0
	s_cmp_ge_u32 s23, s10
	s_cselect_b32 s22, -1, 0
	s_cmp_eq_u32 s18, s11
	s_cselect_b32 s18, s22, s19
	s_add_u32 s19, s7, 1
	s_addc_u32 s22, s20, 0
	s_add_u32 s23, s7, 2
	s_addc_u32 s33, s20, 0
	s_cmp_lg_u32 s18, 0
	s_cselect_b32 s18, s23, s19
	s_cselect_b32 s19, s33, s22
	s_cmp_lg_u64 s[16:17], 0
	s_subb_u32 s15, s15, s21
	s_cmp_ge_u32 s15, s11
	s_cselect_b32 s16, -1, 0
	s_cmp_ge_u32 s14, s10
	s_cselect_b32 s10, -1, 0
	s_cmp_eq_u32 s15, s11
	s_cselect_b32 s10, s10, s16
	s_cmp_lg_u32 s10, 0
	s_cselect_b32 s11, s19, s20
	s_cselect_b32 s10, s18, s7
	s_xor_b64 s[0:1], s[12:13], s[0:1]
	s_xor_b64 s[10:11], s[10:11], s[0:1]
	s_sub_u32 s10, s10, s0
	s_subb_u32 s11, s11, s1
	s_cbranch_execnz .LBB18_4
.LBB18_3:
	v_cvt_f32_u32_e32 v1, s46
	s_sub_i32 s0, 0, s46
	s_mov_b32 s11, 0
	v_rcp_iflag_f32_e32 v1, v1
	v_mul_f32_e32 v1, 0x4f7ffffe, v1
	v_cvt_u32_f32_e32 v1, v1
	v_readfirstlane_b32 s1, v1
	s_mul_i32 s0, s0, s1
	s_mul_hi_u32 s0, s1, s0
	s_add_i32 s1, s1, s0
	s_mul_hi_u32 s0, s8, s1
	s_mul_i32 s2, s0, s46
	s_sub_i32 s2, s8, s2
	s_add_i32 s1, s0, 1
	s_sub_i32 s3, s2, s46
	s_cmp_ge_u32 s2, s46
	s_cselect_b32 s0, s1, s0
	s_cselect_b32 s2, s3, s2
	s_add_i32 s1, s0, 1
	s_cmp_ge_u32 s2, s46
	s_cselect_b32 s10, s1, s0
.LBB18_4:
	s_mul_i32 s7, s10, s47
	s_mul_hi_u32 s14, s10, s46
	s_load_dwordx8 s[36:43], s[4:5], 0x28
	s_load_dwordx2 s[12:13], s[4:5], 0x48
	s_load_dwordx4 s[0:3], s[4:5], 0x60
	s_add_i32 s7, s14, s7
	s_mul_i32 s14, s11, s46
	s_add_i32 s7, s7, s14
	s_mul_i32 s14, s10, s46
	s_sub_u32 s14, s8, s14
	s_subb_u32 s15, s9, s7
	s_waitcnt lgkmcnt(0)
	s_mul_i32 s7, s43, s6
	s_mul_hi_u32 s8, s42, s6
	s_add_i32 s9, s8, s7
	s_mul_i32 s8, s42, s6
	s_lshl_b64 s[42:43], s[8:9], 1
	s_add_u32 s72, s24, s42
	s_addc_u32 s7, s25, s43
                                        ; implicit-def: $vgpr63 : SGPR spill to VGPR lane
	s_mul_hi_u32 s8, s12, s6
	v_writelane_b32 v63, s7, 0
	s_mul_i32 s7, s13, s6
	s_add_i32 s7, s8, s7
	s_mul_i32 s6, s12, s6
	s_lshl_b64 s[34:35], s[6:7], 1
	s_add_u32 s67, s26, s34
	s_mul_i32 s6, s10, s37
	s_mul_hi_u32 s7, s10, s36
	s_addc_u32 s68, s27, s35
	s_add_i32 s6, s7, s6
	s_mul_i32 s7, s11, s36
	s_add_i32 s63, s6, s7
	s_mul_i32 s64, s10, s36
	s_add_u32 s6, s28, s64
	s_mul_i32 s8, s14, s39
	s_mul_hi_u32 s9, s14, s38
	s_addc_u32 s7, s29, s63
	s_add_i32 s8, s9, s8
	s_mul_i32 s15, s15, s38
	s_add_i32 s65, s8, s15
	s_mul_i32 s66, s14, s38
	s_add_u32 s74, s6, s66
	s_addc_u32 s75, s7, s65
	s_add_u32 s6, s30, s64
	s_addc_u32 s7, s31, s63
	s_add_u32 s69, s6, s66
	s_load_dword s6, s[4:5], 0x7c
	s_load_dword s71, s[0:1], 0x0
	s_load_dword s33, s[2:3], 0x0
	s_addc_u32 s70, s7, s65
	s_ashr_i32 s5, s45, 31
	s_mov_b32 s4, s45
	s_waitcnt lgkmcnt(0)
	s_and_b32 s62, s6, 0xffff
	s_cmp_lg_u64 s[40:41], s[4:5]
	s_mov_b64 s[0:1], -1
	s_cbranch_scc0 .LBB18_705
; %bb.5:
	v_lshrrev_b32_e32 v36, 5, v0
	v_cmp_gt_i32_e32 vcc, s44, v36
	s_mov_b64 s[0:1], exec
	v_writelane_b32 v63, s0, 1
	v_writelane_b32 v63, s1, 2
	s_and_b64 s[0:1], s[0:1], vcc
	s_mov_b64 exec, s[0:1]
	s_cbranch_execz .LBB18_704
; %bb.6:
	s_lshr_b32 s76, s62, 5
	s_and_b32 s0, s45, 7
	s_cmp_eq_u32 s0, 0
	s_cselect_b64 s[4:5], -1, 0
	s_ashr_i32 s77, s45, 3
	s_add_u32 s2, s66, s64
	s_addc_u32 s3, s65, s63
	v_mov_b32_e32 v1, s2
	v_mov_b32_e32 v2, s3
	v_mad_u64_u32 v[1:2], s[2:3], s40, v36, v[1:2]
	v_and_b32_e32 v37, 31, v0
	v_mov_b32_e32 v6, s29
	v_mad_u64_u32 v[2:3], s[2:3], s41, v36, v[2:3]
	v_lshlrev_b32_e32 v3, 3, v37
	v_add_co_u32_e32 v3, vcc, v1, v3
	s_mul_i32 s2, s41, s76
	s_mul_hi_u32 s3, s40, s76
	v_addc_co_u32_e32 v4, vcc, 0, v2, vcc
	s_add_i32 s80, s3, s2
	v_add_co_u32_e32 v5, vcc, s28, v3
	s_add_u32 s95, s24, s42
	v_addc_co_u32_e32 v6, vcc, v6, v4, vcc
	v_lshlrev_b32_e32 v9, 4, v37
	s_addc_u32 s73, s25, s43
	v_mov_b32_e32 v7, s73
	v_add_co_u32_e32 v45, vcc, s95, v9
	v_addc_co_u32_e32 v46, vcc, 0, v7, vcc
	v_mov_b32_e32 v8, s31
	v_add_co_u32_e32 v7, vcc, s30, v3
	v_addc_co_u32_e32 v8, vcc, v8, v4, vcc
	v_mov_b32_e32 v10, s29
	v_add_co_u32_e32 v42, vcc, s28, v1
	s_add_u32 s84, s26, s34
	v_addc_co_u32_e32 v43, vcc, v10, v2, vcc
	s_addc_u32 s85, s27, s35
	v_add_co_u32_e32 v44, vcc, s30, v1
	v_mov_b32_e32 v1, s85
	v_add_co_u32_e64 v48, s[2:3], s84, v9
	v_mul_lo_u32 v9, s45, v36
	v_addc_co_u32_e64 v60, s[2:3], 0, v1, s[2:3]
	v_mov_b32_e32 v3, s31
	v_readlane_b32 s2, v63, 0
	v_cmp_gt_i32_e64 s[0:1], s77, v37
	v_not_b32_e32 v62, v37
	v_or_b32_e32 v59, 32, v37
	s_mov_b32 s78, s71
	s_mov_b32 s79, s33
	s_mul_i32 s81, s40, s76
	v_addc_co_u32_e32 v47, vcc, v3, v2, vcc
	s_xor_b64 s[38:39], s[4:5], -1
	s_mov_b32 s86, 0x7f800000
	s_mov_b64 s[46:47], 0x7f800000
	s_movk_i32 s87, 0x80
	s_mov_b64 s[48:49], 0x43e00001
	s_movk_i32 s88, 0x7a
	s_movk_i32 s89, 0x79
	;; [unrolled: 1-line block ×3, first 2 shown]
	s_mov_b64 s[50:51], 0xffffff
	s_movk_i32 s91, 0x7f
	s_mov_b32 s92, 0xff00
	v_mov_b32_e32 v61, s2
	v_mov_b32_e32 v49, 0x78
	s_mov_b32 s93, 0x4020c0c
	v_mov_b32_e32 v50, 0xffffff82
	s_mov_b32 s94, 0x43e00001
	s_mov_b64 s[52:53], 0
	v_mov_b32_e32 v12, 0
	buffer_store_dword v48, off, s[96:99], 0 ; 4-byte Folded Spill
	buffer_store_dword v60, off, s[96:99], 0 offset:4 ; 4-byte Folded Spill
	buffer_store_dword v61, off, s[96:99], 0 offset:8 ; 4-byte Folded Spill
	s_branch .LBB18_9
.LBB18_7:                               ;   in Loop: Header=BB18_9 Depth=1
	s_or_b64 exec, exec, s[6:7]
.LBB18_8:                               ;   in Loop: Header=BB18_9 Depth=1
	s_or_b64 exec, exec, s[4:5]
	v_mov_b32_e32 v1, s80
	v_add_co_u32_e32 v5, vcc, s81, v5
	v_addc_co_u32_e32 v6, vcc, v6, v1, vcc
	v_add_co_u32_e32 v42, vcc, s81, v42
	v_addc_co_u32_e32 v43, vcc, v43, v1, vcc
	v_add_co_u32_e32 v7, vcc, s81, v7
	v_add_u32_e32 v36, s76, v36
	v_addc_co_u32_e32 v8, vcc, v8, v1, vcc
	v_cmp_le_i32_e32 vcc, s44, v36
	s_mul_i32 s2, s45, s76
	s_or_b64 s[52:53], vcc, s[52:53]
	v_add_co_u32_e32 v44, vcc, s81, v44
	v_add_u32_e32 v9, s2, v9
	v_addc_co_u32_e32 v47, vcc, v47, v1, vcc
	s_andn2_b64 exec, exec, s[52:53]
	s_cbranch_execz .LBB18_704
.LBB18_9:                               ; =>This Loop Header: Depth=1
                                        ;     Child Loop BB18_35 Depth 2
                                        ;     Child Loop BB18_182 Depth 2
	;; [unrolled: 1-line block ×8, first 2 shown]
	v_mul_lo_u32 v1, v36, s45
	v_mad_u64_u32 v[15:16], s[2:3], s40, v36, 0
	v_ashrrev_i32_e32 v10, 31, v9
	v_ashrrev_i32_e32 v2, 31, v1
	v_lshlrev_b64 v[18:19], 1, v[1:2]
	v_mov_b32_e32 v1, v16
	v_add_co_u32_e32 v52, vcc, s72, v18
	s_waitcnt vmcnt(0)
	v_addc_co_u32_e32 v53, vcc, v61, v19, vcc
	v_mad_u64_u32 v[16:17], s[2:3], s41, v36, v[1:2]
	v_and_b32_e32 v11, 15, v52
	v_cmp_ne_u64_e32 vcc, 0, v[11:12]
	v_lshlrev_b64 v[13:14], 1, v[9:10]
	s_or_b64 s[2:3], s[38:39], vcc
	s_and_saveexec_b64 s[4:5], s[2:3]
	s_xor_b64 s[54:55], exec, s[4:5]
	s_cbranch_execz .LBB18_208
; %bb.10:                               ;   in Loop: Header=BB18_9 Depth=1
	v_mov_b32_e32 v1, s75
	v_add_co_u32_e32 v54, vcc, s74, v15
	v_addc_co_u32_e32 v55, vcc, v1, v16, vcc
	v_sub_u32_e32 v1, 0, v52
	v_bfe_u32 v1, v1, 1, 3
	v_min_i32_e32 v20, s45, v1
	v_cmp_lt_i32_e32 vcc, v37, v20
	s_and_saveexec_b64 s[4:5], vcc
	s_cbranch_execz .LBB18_32
; %bb.11:                               ;   in Loop: Header=BB18_9 Depth=1
	v_lshlrev_b32_e32 v1, 1, v37
	v_add_co_u32_e32 v1, vcc, v52, v1
	v_addc_co_u32_e32 v2, vcc, 0, v53, vcc
	global_load_ushort v1, v[1:2], off
	s_waitcnt vmcnt(0)
	v_cvt_f32_f16_e32 v1, v1
	v_div_scale_f32 v2, s[2:3], s71, s71, v1
	v_div_scale_f32 v3, vcc, v1, s71, v1
	v_rcp_f32_e32 v4, v2
	v_fma_f32 v10, -v2, v4, 1.0
	v_fmac_f32_e32 v4, v10, v4
	v_mul_f32_e32 v10, v3, v4
	v_fma_f32 v11, -v2, v10, v3
	v_fmac_f32_e32 v10, v11, v4
	v_fma_f32 v2, -v2, v10, v3
	v_div_fmas_f32 v2, v2, v4, v10
	v_div_fixup_f32 v1, v2, s71, v1
	v_cvt_f16_f32_e32 v1, v1
                                        ; implicit-def: $vgpr2
	v_cvt_f32_f16_e32 v1, v1
	v_and_b32_e32 v11, 0x7f800000, v1
	v_cmp_ne_u64_e32 vcc, s[46:47], v[11:12]
	s_and_saveexec_b64 s[2:3], vcc
	s_xor_b64 s[6:7], exec, s[2:3]
	s_cbranch_execz .LBB18_29
; %bb.12:                               ;   in Loop: Header=BB18_9 Depth=1
	v_and_b32_e32 v11, 0x7fffffff, v1
	v_cmp_gt_u64_e32 vcc, s[48:49], v[11:12]
	v_and_b32_sdwa v4, v1, s87 dst_sel:DWORD dst_unused:UNUSED_PAD src0_sel:BYTE_3 src1_sel:DWORD
                                        ; implicit-def: $vgpr2
	s_and_saveexec_b64 s[2:3], vcc
	s_xor_b64 s[8:9], exec, s[2:3]
	s_cbranch_execz .LBB18_26
; %bb.13:                               ;   in Loop: Header=BB18_9 Depth=1
	v_cmp_ne_u32_e32 vcc, 0, v1
	v_mov_b32_e32 v2, 0
	s_and_saveexec_b64 s[10:11], vcc
	s_cbranch_execz .LBB18_25
; %bb.14:                               ;   in Loop: Header=BB18_9 Depth=1
	v_bfe_u32 v10, v1, 23, 8
	v_and_b32_e32 v3, 0x7fffff, v1
	v_sub_u32_e32 v1, 0x79, v10
	v_cmp_gt_u32_e32 vcc, s88, v10
	v_cndmask_b32_e32 v1, 0, v1, vcc
	v_cmp_eq_u32_e32 vcc, 0, v10
	v_cndmask_b32_e32 v17, v1, v49, vcc
	v_add_u32_e32 v1, 20, v17
	v_or_b32_e32 v11, 0x800000, v3
	v_lshlrev_b64 v[1:2], v1, -1
	v_cndmask_b32_e32 v11, v11, v3, vcc
	v_bfi_b32 v21, v1, 0, v11
	v_add_u32_e32 v1, 19, v17
	v_bfi_b32 v22, v2, 0, 0
	v_lshlrev_b64 v[23:24], v1, 1
	v_lshrrev_b64 v[1:2], v17, v[11:12]
	v_cmp_eq_u64_e64 s[2:3], v[21:22], v[23:24]
	v_mov_b32_e32 v3, v2
	v_mov_b32_e32 v2, v1
	s_and_saveexec_b64 s[12:13], s[2:3]
; %bb.15:                               ;   in Loop: Header=BB18_9 Depth=1
	v_bfe_u32 v2, v1, 20, 1
	v_add_co_u32_e64 v2, s[2:3], v1, v2
	v_add_co_u32_e64 v2, s[2:3], -1, v2
; %bb.16:                               ;   in Loop: Header=BB18_9 Depth=1
	s_or_b64 exec, exec, s[12:13]
	v_add_u32_e32 v3, 0xffffff81, v10
	v_cndmask_b32_e32 v3, v3, v50, vcc
	v_lshrrev_b32_e32 v10, 23, v1
	v_add3_u32 v17, v17, v3, v10
	v_add_u32_e32 v10, 6, v17
	v_and_b32_e32 v2, 0xfffff, v2
	v_add_u32_e32 v11, v2, v1
	v_cmp_ne_u32_e32 vcc, 0, v10
                                        ; implicit-def: $vgpr1_vgpr2
                                        ; implicit-def: $vgpr3
	s_and_saveexec_b64 s[2:3], vcc
	s_xor_b64 s[2:3], exec, s[2:3]
; %bb.17:                               ;   in Loop: Header=BB18_9 Depth=1
	v_cmp_lt_u64_e32 vcc, s[50:51], v[11:12]
	v_add_u32_e32 v1, 7, v17
	v_cndmask_b32_e32 v3, v10, v1, vcc
	v_cndmask_b32_e64 v1, 0, 1, vcc
	v_lshrrev_b64 v[1:2], v1, v[11:12]
; %bb.18:                               ;   in Loop: Header=BB18_9 Depth=1
	s_andn2_saveexec_b64 s[2:3], s[2:3]
; %bb.19:                               ;   in Loop: Header=BB18_9 Depth=1
	v_mov_b32_e32 v1, v11
	v_bfe_u32 v3, v11, 23, 1
	v_mov_b32_e32 v2, v12
; %bb.20:                               ;   in Loop: Header=BB18_9 Depth=1
	s_or_b64 exec, exec, s[2:3]
	v_lshrrev_b64 v[1:2], 20, v[1:2]
	v_cmp_gt_i32_e32 vcc, 16, v3
	v_cndmask_b32_e32 v2, 0, v2, vcc
	v_cndmask_b32_e32 v1, 7, v1, vcc
	v_cmp_ne_u64_e32 vcc, 0, v[1:2]
	v_cmp_ne_u32_e64 s[2:3], 0, v3
	s_or_b64 s[2:3], s[2:3], vcc
                                        ; implicit-def: $vgpr2
	s_and_saveexec_b64 s[12:13], s[2:3]
	s_xor_b64 s[2:3], exec, s[12:13]
; %bb.21:                               ;   in Loop: Header=BB18_9 Depth=1
	v_min_i32_e32 v2, 15, v3
	v_lshl_or_b32 v2, v2, 3, v4
	v_and_or_b32 v2, v1, 7, v2
                                        ; implicit-def: $vgpr4
; %bb.22:                               ;   in Loop: Header=BB18_9 Depth=1
	s_andn2_saveexec_b64 s[2:3], s[2:3]
; %bb.23:                               ;   in Loop: Header=BB18_9 Depth=1
	v_mov_b32_e32 v2, v4
; %bb.24:                               ;   in Loop: Header=BB18_9 Depth=1
	s_or_b64 exec, exec, s[2:3]
.LBB18_25:                              ;   in Loop: Header=BB18_9 Depth=1
	s_or_b64 exec, exec, s[10:11]
                                        ; implicit-def: $vgpr4
.LBB18_26:                              ;   in Loop: Header=BB18_9 Depth=1
	s_andn2_saveexec_b64 s[2:3], s[8:9]
; %bb.27:                               ;   in Loop: Header=BB18_9 Depth=1
	v_or_b32_e32 v2, 0x7e, v4
; %bb.28:                               ;   in Loop: Header=BB18_9 Depth=1
	s_or_b64 exec, exec, s[2:3]
                                        ; implicit-def: $vgpr1
.LBB18_29:                              ;   in Loop: Header=BB18_9 Depth=1
	s_andn2_saveexec_b64 s[2:3], s[6:7]
; %bb.30:                               ;   in Loop: Header=BB18_9 Depth=1
	v_or_b32_sdwa v2, v1, s91 dst_sel:DWORD dst_unused:UNUSED_PAD src0_sel:BYTE_3 src1_sel:DWORD
; %bb.31:                               ;   in Loop: Header=BB18_9 Depth=1
	s_or_b64 exec, exec, s[2:3]
	v_add_co_u32_e32 v3, vcc, v54, v37
	v_addc_co_u32_e32 v4, vcc, 0, v55, vcc
	global_store_byte v[3:4], v2, off
.LBB18_32:                              ;   in Loop: Header=BB18_9 Depth=1
	s_or_b64 exec, exec, s[4:5]
	v_sub_u32_e32 v51, s45, v20
	v_ashrrev_i32_e32 v1, 31, v51
	v_lshrrev_b32_e32 v1, 29, v1
	v_ashrrev_i32_e32 v21, 31, v20
	v_add_u32_e32 v1, v51, v1
	v_ashrrev_i32_e32 v56, 3, v1
	v_lshlrev_b64 v[22:23], 1, v[20:21]
	v_cmp_lt_i32_e32 vcc, v37, v56
	s_and_saveexec_b64 s[4:5], vcc
	s_cbranch_execz .LBB18_179
; %bb.33:                               ;   in Loop: Header=BB18_9 Depth=1
	v_add_co_u32_e32 v24, vcc, v5, v20
	v_addc_co_u32_e32 v25, vcc, v6, v21, vcc
	v_add_co_u32_e32 v1, vcc, v22, v13
	v_addc_co_u32_e32 v2, vcc, v23, v14, vcc
	;; [unrolled: 2-line block ×3, first 2 shown]
	s_mov_b64 s[6:7], 0
	v_mov_b32_e32 v57, v37
	s_branch .LBB18_35
.LBB18_34:                              ;   in Loop: Header=BB18_35 Depth=2
	s_or_b64 exec, exec, s[2:3]
	v_lshlrev_b32_e32 v4, 16, v31
	v_lshlrev_b32_e32 v3, 24, v32
	v_and_b32_e32 v4, 0xff0000, v4
	v_lshlrev_b32_e32 v2, 8, v2
	v_or_b32_e32 v3, v3, v4
	v_and_b32_e32 v2, 0xff00, v2
	v_and_b32_e32 v4, 0xff, v30
	v_or3_b32 v2, v3, v2, v4
	v_lshlrev_b32_e32 v3, 16, v29
	v_lshlrev_b32_e32 v4, 8, v28
	v_perm_b32 v1, v1, v3, s93
	v_and_or_b32 v1, v4, s92, v1
	v_or_b32_sdwa v1, v1, v10 dst_sel:DWORD dst_unused:UNUSED_PAD src0_sel:DWORD src1_sel:BYTE_0
	global_store_dwordx2 v[24:25], v[1:2], off
	v_add_co_u32_e32 v24, vcc, 0x100, v24
	v_add_u32_e32 v57, 32, v57
	v_addc_co_u32_e32 v25, vcc, 0, v25, vcc
	v_add_co_u32_e32 v26, vcc, 0x200, v26
	v_cmp_ge_i32_e64 s[2:3], v57, v56
	s_or_b64 s[6:7], s[2:3], s[6:7]
	v_addc_co_u32_e32 v27, vcc, 0, v27, vcc
	s_andn2_b64 exec, exec, s[6:7]
	s_cbranch_execz .LBB18_179
.LBB18_35:                              ;   Parent Loop BB18_9 Depth=1
                                        ; =>  This Inner Loop Header: Depth=2
	global_load_dwordx4 v[1:4], v[26:27], off
	s_waitcnt vmcnt(0)
	v_cvt_f32_f16_e32 v10, v1
	v_div_scale_f32 v11, s[2:3], s71, s71, v10
	v_div_scale_f32 v17, vcc, v10, s71, v10
	v_rcp_f32_e32 v28, v11
	v_fma_f32 v29, -v11, v28, 1.0
	v_fmac_f32_e32 v28, v29, v28
	v_mul_f32_e32 v29, v17, v28
	v_fma_f32 v30, -v11, v29, v17
	v_fmac_f32_e32 v29, v30, v28
	v_fma_f32 v11, -v11, v29, v17
	v_div_fmas_f32 v11, v11, v28, v29
	v_div_fixup_f32 v10, v11, s71, v10
	v_cvt_f16_f32_e32 v10, v10
	v_cvt_f32_f16_e32 v28, v10
	v_and_b32_e32 v11, 0x7f800000, v28
	v_cmp_ne_u64_e32 vcc, s[46:47], v[11:12]
                                        ; implicit-def: $vgpr10_vgpr11
	s_and_saveexec_b64 s[2:3], vcc
	s_xor_b64 s[8:9], exec, s[2:3]
	s_cbranch_execz .LBB18_51
; %bb.36:                               ;   in Loop: Header=BB18_35 Depth=2
	v_and_b32_e32 v11, 0x7fffffff, v28
	v_cmp_gt_u64_e32 vcc, s[48:49], v[11:12]
	v_and_b32_sdwa v17, v28, s87 dst_sel:DWORD dst_unused:UNUSED_PAD src0_sel:BYTE_3 src1_sel:DWORD
                                        ; implicit-def: $vgpr10_vgpr11
	s_and_saveexec_b64 s[2:3], vcc
	s_xor_b64 s[10:11], exec, s[2:3]
	s_cbranch_execz .LBB18_48
; %bb.37:                               ;   in Loop: Header=BB18_35 Depth=2
	v_mov_b32_e32 v10, 0
	v_cmp_ne_u32_e32 vcc, 0, v28
	v_mov_b32_e32 v11, 0
	s_and_saveexec_b64 s[12:13], vcc
	s_cbranch_execz .LBB18_47
; %bb.38:                               ;   in Loop: Header=BB18_35 Depth=2
	v_bfe_u32 v30, v28, 23, 8
	v_sub_u32_e32 v11, 0x79, v30
	v_cmp_gt_u32_e32 vcc, s88, v30
	v_cndmask_b32_e32 v11, 0, v11, vcc
	v_cmp_eq_u32_e32 vcc, 0, v30
	v_cndmask_b32_e32 v31, v11, v49, vcc
	v_and_b32_e32 v10, 0x7fffff, v28
	v_add_u32_e32 v11, 20, v31
	v_or_b32_e32 v32, 0x800000, v10
	v_lshlrev_b64 v[28:29], v11, -1
	v_cndmask_b32_e32 v11, v32, v10, vcc
	v_add_u32_e32 v10, 19, v31
	v_bfi_b32 v28, v28, 0, v11
	v_lshlrev_b64 v[32:33], v10, 1
	v_lshrrev_b64 v[10:11], v31, v[11:12]
	v_bfi_b32 v29, v29, 0, 0
	v_cmp_eq_u64_e64 s[2:3], v[28:29], v[32:33]
	v_mov_b32_e32 v29, v11
	v_mov_b32_e32 v28, v10
	s_and_saveexec_b64 s[14:15], s[2:3]
; %bb.39:                               ;   in Loop: Header=BB18_35 Depth=2
	v_bfe_u32 v11, v10, 20, 1
	v_add_co_u32_e64 v11, s[2:3], v10, v11
	v_add_co_u32_e64 v28, s[2:3], -1, v11
; %bb.40:                               ;   in Loop: Header=BB18_35 Depth=2
	s_or_b64 exec, exec, s[14:15]
	v_add_u32_e32 v11, 0xffffff81, v30
	v_cndmask_b32_e32 v11, v11, v50, vcc
	v_lshrrev_b32_e32 v29, 23, v10
	v_add3_u32 v32, v31, v11, v29
	v_add_u32_e32 v31, 6, v32
	v_and_b32_e32 v11, 0xfffff, v28
	v_add_u32_e32 v11, v11, v10
	v_cmp_ne_u32_e32 vcc, 0, v31
                                        ; implicit-def: $vgpr28_vgpr29
                                        ; implicit-def: $vgpr30
	s_and_saveexec_b64 s[2:3], vcc
	s_xor_b64 s[2:3], exec, s[2:3]
; %bb.41:                               ;   in Loop: Header=BB18_35 Depth=2
	v_cmp_lt_u64_e32 vcc, s[50:51], v[11:12]
	v_add_u32_e32 v10, 7, v32
	v_cndmask_b32_e32 v30, v31, v10, vcc
	v_cndmask_b32_e64 v10, 0, 1, vcc
	v_lshrrev_b64 v[28:29], v10, v[11:12]
; %bb.42:                               ;   in Loop: Header=BB18_35 Depth=2
	s_andn2_saveexec_b64 s[2:3], s[2:3]
; %bb.43:                               ;   in Loop: Header=BB18_35 Depth=2
	v_mov_b32_e32 v29, v12
	v_bfe_u32 v30, v11, 23, 1
	v_mov_b32_e32 v28, v11
; %bb.44:                               ;   in Loop: Header=BB18_35 Depth=2
	s_or_b64 exec, exec, s[2:3]
	v_lshrrev_b64 v[10:11], 20, v[28:29]
	v_cmp_gt_i32_e32 vcc, 16, v30
	v_cndmask_b32_e32 v29, 0, v11, vcc
	v_cndmask_b32_e32 v28, 7, v10, vcc
	v_cmp_ne_u64_e32 vcc, 0, v[28:29]
	v_cmp_ne_u32_e64 s[2:3], 0, v30
	s_or_b64 s[2:3], s[2:3], vcc
	v_mov_b32_e32 v10, v17
	v_mov_b32_e32 v11, v18
	s_and_saveexec_b64 s[14:15], s[2:3]
	s_xor_b64 s[2:3], exec, s[14:15]
; %bb.45:                               ;   in Loop: Header=BB18_35 Depth=2
	v_min_i32_e32 v10, 15, v30
	v_lshl_or_b32 v10, v10, 3, v17
	v_and_or_b32 v10, v28, 7, v10
; %bb.46:                               ;   in Loop: Header=BB18_35 Depth=2
	s_andn2_saveexec_b64 s[2:3], s[2:3]
	s_or_b64 exec, exec, s[2:3]
.LBB18_47:                              ;   in Loop: Header=BB18_35 Depth=2
	s_or_b64 exec, exec, s[12:13]
                                        ; implicit-def: $vgpr17
.LBB18_48:                              ;   in Loop: Header=BB18_35 Depth=2
	s_andn2_saveexec_b64 s[2:3], s[10:11]
; %bb.49:                               ;   in Loop: Header=BB18_35 Depth=2
	v_or_b32_e32 v10, 0x7e, v17
; %bb.50:                               ;   in Loop: Header=BB18_35 Depth=2
	s_or_b64 exec, exec, s[2:3]
                                        ; implicit-def: $vgpr28
.LBB18_51:                              ;   in Loop: Header=BB18_35 Depth=2
	s_andn2_saveexec_b64 s[2:3], s[8:9]
; %bb.52:                               ;   in Loop: Header=BB18_35 Depth=2
	v_or_b32_sdwa v10, v28, s91 dst_sel:DWORD dst_unused:UNUSED_PAD src0_sel:BYTE_3 src1_sel:DWORD
; %bb.53:                               ;   in Loop: Header=BB18_35 Depth=2
	s_or_b64 exec, exec, s[2:3]
	v_cvt_f32_f16_sdwa v1, v1 dst_sel:DWORD dst_unused:UNUSED_PAD src0_sel:WORD_1
	v_div_scale_f32 v11, s[2:3], s71, s71, v1
	v_div_scale_f32 v17, vcc, v1, s71, v1
	v_rcp_f32_e32 v28, v11
	v_fma_f32 v29, -v11, v28, 1.0
	v_fmac_f32_e32 v28, v29, v28
	v_mul_f32_e32 v29, v17, v28
	v_fma_f32 v30, -v11, v29, v17
	v_fmac_f32_e32 v29, v30, v28
	v_fma_f32 v11, -v11, v29, v17
	v_div_fmas_f32 v11, v11, v28, v29
                                        ; implicit-def: $vgpr28_vgpr29
	v_div_fixup_f32 v1, v11, s71, v1
	v_cvt_f16_f32_e32 v1, v1
	v_cvt_f32_f16_e32 v17, v1
	v_and_b32_e32 v11, 0x7f800000, v17
	v_cmp_ne_u64_e32 vcc, s[46:47], v[11:12]
	s_and_saveexec_b64 s[2:3], vcc
	s_xor_b64 s[8:9], exec, s[2:3]
	s_cbranch_execz .LBB18_69
; %bb.54:                               ;   in Loop: Header=BB18_35 Depth=2
	v_and_b32_e32 v11, 0x7fffffff, v17
	v_cmp_gt_u64_e32 vcc, s[48:49], v[11:12]
	v_and_b32_sdwa v1, v17, s87 dst_sel:DWORD dst_unused:UNUSED_PAD src0_sel:BYTE_3 src1_sel:DWORD
                                        ; implicit-def: $vgpr28_vgpr29
	s_and_saveexec_b64 s[2:3], vcc
	s_xor_b64 s[10:11], exec, s[2:3]
	s_cbranch_execz .LBB18_66
; %bb.55:                               ;   in Loop: Header=BB18_35 Depth=2
	v_mov_b32_e32 v28, 0
	v_cmp_ne_u32_e32 vcc, 0, v17
	v_mov_b32_e32 v29, 0
	s_and_saveexec_b64 s[12:13], vcc
	s_cbranch_execz .LBB18_65
; %bb.56:                               ;   in Loop: Header=BB18_35 Depth=2
	v_and_b32_e32 v11, 0x7fffff, v17
	v_bfe_u32 v17, v17, 23, 8
	v_sub_u32_e32 v28, 0x79, v17
	v_cmp_gt_u32_e32 vcc, s88, v17
	v_cndmask_b32_e32 v28, 0, v28, vcc
	v_cmp_eq_u32_e32 vcc, 0, v17
	v_cndmask_b32_e32 v31, v28, v49, vcc
	v_add_u32_e32 v28, 20, v31
	v_or_b32_e32 v30, 0x800000, v11
	v_lshlrev_b64 v[28:29], v28, -1
	v_cndmask_b32_e32 v11, v30, v11, vcc
	v_bfi_b32 v32, v28, 0, v11
	v_add_u32_e32 v28, 19, v31
	v_bfi_b32 v33, v29, 0, 0
	v_lshlrev_b64 v[34:35], v28, 1
	v_lshrrev_b64 v[28:29], v31, v[11:12]
	v_cmp_eq_u64_e64 s[2:3], v[32:33], v[34:35]
	v_mov_b32_e32 v30, v29
	v_mov_b32_e32 v29, v28
	s_and_saveexec_b64 s[14:15], s[2:3]
; %bb.57:                               ;   in Loop: Header=BB18_35 Depth=2
	v_bfe_u32 v11, v28, 20, 1
	v_add_co_u32_e64 v11, s[2:3], v28, v11
	v_add_co_u32_e64 v29, s[2:3], -1, v11
; %bb.58:                               ;   in Loop: Header=BB18_35 Depth=2
	s_or_b64 exec, exec, s[14:15]
	v_add_u32_e32 v11, 0xffffff81, v17
	v_cndmask_b32_e32 v11, v11, v50, vcc
	v_lshrrev_b32_e32 v17, 23, v28
	v_add3_u32 v31, v31, v11, v17
	v_add_u32_e32 v30, 6, v31
	v_and_b32_e32 v11, 0xfffff, v29
	v_add_u32_e32 v11, v11, v28
	v_cmp_ne_u32_e32 vcc, 0, v30
                                        ; implicit-def: $vgpr28_vgpr29
                                        ; implicit-def: $vgpr17
	s_and_saveexec_b64 s[2:3], vcc
	s_xor_b64 s[2:3], exec, s[2:3]
; %bb.59:                               ;   in Loop: Header=BB18_35 Depth=2
	v_cmp_lt_u64_e32 vcc, s[50:51], v[11:12]
	v_add_u32_e32 v17, 7, v31
	v_cndmask_b32_e64 v28, 0, 1, vcc
	v_lshrrev_b64 v[28:29], v28, v[11:12]
	v_cndmask_b32_e32 v17, v30, v17, vcc
; %bb.60:                               ;   in Loop: Header=BB18_35 Depth=2
	s_andn2_saveexec_b64 s[2:3], s[2:3]
; %bb.61:                               ;   in Loop: Header=BB18_35 Depth=2
	v_mov_b32_e32 v29, v12
	v_bfe_u32 v17, v11, 23, 1
	v_mov_b32_e32 v28, v11
; %bb.62:                               ;   in Loop: Header=BB18_35 Depth=2
	s_or_b64 exec, exec, s[2:3]
	v_lshrrev_b64 v[28:29], 20, v[28:29]
	v_cmp_gt_i32_e32 vcc, 16, v17
	v_cndmask_b32_e32 v31, 0, v29, vcc
	v_cndmask_b32_e32 v30, 7, v28, vcc
	v_cmp_ne_u64_e32 vcc, 0, v[30:31]
	v_cmp_ne_u32_e64 s[2:3], 0, v17
	v_mov_b32_e32 v29, v2
	s_or_b64 s[2:3], s[2:3], vcc
	v_mov_b32_e32 v28, v1
	s_and_saveexec_b64 s[14:15], s[2:3]
	s_xor_b64 s[2:3], exec, s[14:15]
; %bb.63:                               ;   in Loop: Header=BB18_35 Depth=2
	v_min_i32_e32 v11, 15, v17
	v_lshl_or_b32 v1, v11, 3, v1
	v_and_or_b32 v28, v30, 7, v1
; %bb.64:                               ;   in Loop: Header=BB18_35 Depth=2
	s_andn2_saveexec_b64 s[2:3], s[2:3]
	s_or_b64 exec, exec, s[2:3]
.LBB18_65:                              ;   in Loop: Header=BB18_35 Depth=2
	s_or_b64 exec, exec, s[12:13]
                                        ; implicit-def: $vgpr1
.LBB18_66:                              ;   in Loop: Header=BB18_35 Depth=2
	s_andn2_saveexec_b64 s[2:3], s[10:11]
; %bb.67:                               ;   in Loop: Header=BB18_35 Depth=2
	v_or_b32_e32 v28, 0x7e, v1
; %bb.68:                               ;   in Loop: Header=BB18_35 Depth=2
	s_or_b64 exec, exec, s[2:3]
                                        ; implicit-def: $vgpr17
.LBB18_69:                              ;   in Loop: Header=BB18_35 Depth=2
	s_andn2_saveexec_b64 s[2:3], s[8:9]
; %bb.70:                               ;   in Loop: Header=BB18_35 Depth=2
	v_or_b32_sdwa v28, v17, s91 dst_sel:DWORD dst_unused:UNUSED_PAD src0_sel:BYTE_3 src1_sel:DWORD
; %bb.71:                               ;   in Loop: Header=BB18_35 Depth=2
	s_or_b64 exec, exec, s[2:3]
	v_cvt_f32_f16_e32 v1, v2
	v_div_scale_f32 v11, s[2:3], s71, s71, v1
	v_div_scale_f32 v17, vcc, v1, s71, v1
	v_rcp_f32_e32 v29, v11
	v_fma_f32 v30, -v11, v29, 1.0
	v_fmac_f32_e32 v29, v30, v29
	v_mul_f32_e32 v30, v17, v29
	v_fma_f32 v31, -v11, v30, v17
	v_fmac_f32_e32 v30, v31, v29
	v_fma_f32 v11, -v11, v30, v17
	v_div_fmas_f32 v11, v11, v29, v30
                                        ; implicit-def: $vgpr29_vgpr30
	v_div_fixup_f32 v1, v11, s71, v1
	v_cvt_f16_f32_e32 v1, v1
	v_cvt_f32_f16_e32 v17, v1
	v_and_b32_e32 v11, 0x7f800000, v17
	v_cmp_ne_u64_e32 vcc, s[46:47], v[11:12]
	s_and_saveexec_b64 s[2:3], vcc
	s_xor_b64 s[8:9], exec, s[2:3]
	s_cbranch_execz .LBB18_87
; %bb.72:                               ;   in Loop: Header=BB18_35 Depth=2
	v_and_b32_e32 v11, 0x7fffffff, v17
	v_cmp_gt_u64_e32 vcc, s[48:49], v[11:12]
	v_and_b32_sdwa v1, v17, s87 dst_sel:DWORD dst_unused:UNUSED_PAD src0_sel:BYTE_3 src1_sel:DWORD
                                        ; implicit-def: $vgpr29_vgpr30
	s_and_saveexec_b64 s[2:3], vcc
	s_xor_b64 s[10:11], exec, s[2:3]
	s_cbranch_execz .LBB18_84
; %bb.73:                               ;   in Loop: Header=BB18_35 Depth=2
	v_mov_b32_e32 v29, 0
	v_cmp_ne_u32_e32 vcc, 0, v17
	v_mov_b32_e32 v30, 0
	s_and_saveexec_b64 s[12:13], vcc
	s_cbranch_execz .LBB18_83
; %bb.74:                               ;   in Loop: Header=BB18_35 Depth=2
	v_and_b32_e32 v11, 0x7fffff, v17
	v_bfe_u32 v17, v17, 23, 8
	v_sub_u32_e32 v29, 0x79, v17
	v_cmp_gt_u32_e32 vcc, s88, v17
	v_cndmask_b32_e32 v29, 0, v29, vcc
	v_cmp_eq_u32_e32 vcc, 0, v17
	v_cndmask_b32_e32 v32, v29, v49, vcc
	v_add_u32_e32 v29, 20, v32
	v_or_b32_e32 v31, 0x800000, v11
	v_lshlrev_b64 v[29:30], v29, -1
	v_cndmask_b32_e32 v11, v31, v11, vcc
	v_bfi_b32 v33, v29, 0, v11
	v_add_u32_e32 v29, 19, v32
	v_bfi_b32 v34, v30, 0, 0
	v_lshlrev_b64 v[38:39], v29, 1
	v_lshrrev_b64 v[29:30], v32, v[11:12]
	v_cmp_eq_u64_e64 s[2:3], v[33:34], v[38:39]
	v_mov_b32_e32 v31, v30
	v_mov_b32_e32 v30, v29
	s_and_saveexec_b64 s[14:15], s[2:3]
; %bb.75:                               ;   in Loop: Header=BB18_35 Depth=2
	v_bfe_u32 v11, v29, 20, 1
	v_add_co_u32_e64 v11, s[2:3], v29, v11
	v_add_co_u32_e64 v30, s[2:3], -1, v11
; %bb.76:                               ;   in Loop: Header=BB18_35 Depth=2
	s_or_b64 exec, exec, s[14:15]
	v_add_u32_e32 v11, 0xffffff81, v17
	v_cndmask_b32_e32 v11, v11, v50, vcc
	v_lshrrev_b32_e32 v17, 23, v29
	v_add3_u32 v32, v32, v11, v17
	v_add_u32_e32 v31, 6, v32
	v_and_b32_e32 v11, 0xfffff, v30
	v_add_u32_e32 v11, v11, v29
	v_cmp_ne_u32_e32 vcc, 0, v31
                                        ; implicit-def: $vgpr29_vgpr30
                                        ; implicit-def: $vgpr17
	s_and_saveexec_b64 s[2:3], vcc
	s_xor_b64 s[2:3], exec, s[2:3]
; %bb.77:                               ;   in Loop: Header=BB18_35 Depth=2
	v_cmp_lt_u64_e32 vcc, s[50:51], v[11:12]
	v_add_u32_e32 v17, 7, v32
	v_cndmask_b32_e64 v29, 0, 1, vcc
	v_lshrrev_b64 v[29:30], v29, v[11:12]
	v_cndmask_b32_e32 v17, v31, v17, vcc
; %bb.78:                               ;   in Loop: Header=BB18_35 Depth=2
	s_andn2_saveexec_b64 s[2:3], s[2:3]
; %bb.79:                               ;   in Loop: Header=BB18_35 Depth=2
	v_mov_b32_e32 v30, v12
	v_bfe_u32 v17, v11, 23, 1
	v_mov_b32_e32 v29, v11
; %bb.80:                               ;   in Loop: Header=BB18_35 Depth=2
	s_or_b64 exec, exec, s[2:3]
	v_lshrrev_b64 v[29:30], 20, v[29:30]
	v_cmp_gt_i32_e32 vcc, 16, v17
	v_cndmask_b32_e32 v32, 0, v30, vcc
	v_cndmask_b32_e32 v31, 7, v29, vcc
	v_cmp_ne_u64_e32 vcc, 0, v[31:32]
	v_cmp_ne_u32_e64 s[2:3], 0, v17
	v_mov_b32_e32 v30, v2
	s_or_b64 s[2:3], s[2:3], vcc
	v_mov_b32_e32 v29, v1
	s_and_saveexec_b64 s[14:15], s[2:3]
	s_xor_b64 s[2:3], exec, s[14:15]
; %bb.81:                               ;   in Loop: Header=BB18_35 Depth=2
	v_min_i32_e32 v11, 15, v17
	v_lshl_or_b32 v1, v11, 3, v1
	v_and_or_b32 v29, v31, 7, v1
; %bb.82:                               ;   in Loop: Header=BB18_35 Depth=2
	s_andn2_saveexec_b64 s[2:3], s[2:3]
	s_or_b64 exec, exec, s[2:3]
.LBB18_83:                              ;   in Loop: Header=BB18_35 Depth=2
	s_or_b64 exec, exec, s[12:13]
                                        ; implicit-def: $vgpr1
.LBB18_84:                              ;   in Loop: Header=BB18_35 Depth=2
	s_andn2_saveexec_b64 s[2:3], s[10:11]
; %bb.85:                               ;   in Loop: Header=BB18_35 Depth=2
	v_or_b32_e32 v29, 0x7e, v1
; %bb.86:                               ;   in Loop: Header=BB18_35 Depth=2
	s_or_b64 exec, exec, s[2:3]
                                        ; implicit-def: $vgpr17
.LBB18_87:                              ;   in Loop: Header=BB18_35 Depth=2
	s_andn2_saveexec_b64 s[2:3], s[8:9]
; %bb.88:                               ;   in Loop: Header=BB18_35 Depth=2
	v_or_b32_sdwa v29, v17, s91 dst_sel:DWORD dst_unused:UNUSED_PAD src0_sel:BYTE_3 src1_sel:DWORD
; %bb.89:                               ;   in Loop: Header=BB18_35 Depth=2
	s_or_b64 exec, exec, s[2:3]
	v_cvt_f32_f16_sdwa v1, v2 dst_sel:DWORD dst_unused:UNUSED_PAD src0_sel:WORD_1
	v_div_scale_f32 v2, s[2:3], s71, s71, v1
	v_div_scale_f32 v11, vcc, v1, s71, v1
	v_rcp_f32_e32 v17, v2
	v_fma_f32 v30, -v2, v17, 1.0
	v_fmac_f32_e32 v17, v30, v17
	v_mul_f32_e32 v30, v11, v17
	v_fma_f32 v31, -v2, v30, v11
	v_fmac_f32_e32 v30, v31, v17
	v_fma_f32 v2, -v2, v30, v11
	v_div_fmas_f32 v2, v2, v17, v30
	v_div_fixup_f32 v1, v2, s71, v1
	v_cvt_f16_f32_e32 v1, v1
	v_cvt_f32_f16_e32 v30, v1
                                        ; implicit-def: $vgpr1_vgpr2
	v_and_b32_e32 v11, 0x7f800000, v30
	v_cmp_ne_u64_e32 vcc, s[46:47], v[11:12]
	s_and_saveexec_b64 s[2:3], vcc
	s_xor_b64 s[8:9], exec, s[2:3]
	s_cbranch_execz .LBB18_105
; %bb.90:                               ;   in Loop: Header=BB18_35 Depth=2
	v_and_b32_e32 v11, 0x7fffffff, v30
	v_cmp_gt_u64_e32 vcc, s[48:49], v[11:12]
	v_and_b32_sdwa v17, v30, s87 dst_sel:DWORD dst_unused:UNUSED_PAD src0_sel:BYTE_3 src1_sel:DWORD
                                        ; implicit-def: $vgpr1_vgpr2
	s_and_saveexec_b64 s[2:3], vcc
	s_xor_b64 s[10:11], exec, s[2:3]
	s_cbranch_execz .LBB18_102
; %bb.91:                               ;   in Loop: Header=BB18_35 Depth=2
	v_mov_b32_e32 v1, 0
	v_cmp_ne_u32_e32 vcc, 0, v30
	v_mov_b32_e32 v2, 0
	s_and_saveexec_b64 s[12:13], vcc
	s_cbranch_execz .LBB18_101
; %bb.92:                               ;   in Loop: Header=BB18_35 Depth=2
	v_bfe_u32 v32, v30, 23, 8
	v_sub_u32_e32 v1, 0x79, v32
	v_cmp_gt_u32_e32 vcc, s88, v32
	v_cndmask_b32_e32 v1, 0, v1, vcc
	v_cmp_eq_u32_e32 vcc, 0, v32
	v_cndmask_b32_e32 v33, v1, v49, vcc
	v_and_b32_e32 v11, 0x7fffff, v30
	v_add_u32_e32 v1, 20, v33
	v_or_b32_e32 v30, 0x800000, v11
	v_lshlrev_b64 v[1:2], v1, -1
	v_cndmask_b32_e32 v11, v30, v11, vcc
	v_bfi_b32 v30, v1, 0, v11
	v_add_u32_e32 v1, 19, v33
	v_bfi_b32 v31, v2, 0, 0
	v_lshlrev_b64 v[34:35], v1, 1
	v_lshrrev_b64 v[1:2], v33, v[11:12]
	v_cmp_eq_u64_e64 s[2:3], v[30:31], v[34:35]
	v_mov_b32_e32 v31, v2
	v_mov_b32_e32 v30, v1
	s_and_saveexec_b64 s[14:15], s[2:3]
; %bb.93:                               ;   in Loop: Header=BB18_35 Depth=2
	v_bfe_u32 v2, v1, 20, 1
	v_add_co_u32_e64 v2, s[2:3], v1, v2
	v_add_co_u32_e64 v30, s[2:3], -1, v2
; %bb.94:                               ;   in Loop: Header=BB18_35 Depth=2
	s_or_b64 exec, exec, s[14:15]
	v_add_u32_e32 v2, 0xffffff81, v32
	v_cndmask_b32_e32 v2, v2, v50, vcc
	v_lshrrev_b32_e32 v11, 23, v1
	v_add3_u32 v33, v33, v2, v11
	v_add_u32_e32 v31, 6, v33
	v_and_b32_e32 v2, 0xfffff, v30
	v_add_u32_e32 v11, v2, v1
	v_cmp_ne_u32_e32 vcc, 0, v31
                                        ; implicit-def: $vgpr1_vgpr2
                                        ; implicit-def: $vgpr32
	s_and_saveexec_b64 s[2:3], vcc
	s_xor_b64 s[2:3], exec, s[2:3]
; %bb.95:                               ;   in Loop: Header=BB18_35 Depth=2
	v_cmp_lt_u64_e32 vcc, s[50:51], v[11:12]
	v_add_u32_e32 v1, 7, v33
	v_cndmask_b32_e32 v32, v31, v1, vcc
	v_cndmask_b32_e64 v1, 0, 1, vcc
	v_lshrrev_b64 v[1:2], v1, v[11:12]
; %bb.96:                               ;   in Loop: Header=BB18_35 Depth=2
	s_andn2_saveexec_b64 s[2:3], s[2:3]
; %bb.97:                               ;   in Loop: Header=BB18_35 Depth=2
	v_mov_b32_e32 v1, v11
	v_bfe_u32 v32, v11, 23, 1
	v_mov_b32_e32 v2, v12
; %bb.98:                               ;   in Loop: Header=BB18_35 Depth=2
	s_or_b64 exec, exec, s[2:3]
	v_lshrrev_b64 v[1:2], 20, v[1:2]
	v_cmp_gt_i32_e32 vcc, 16, v32
	v_cndmask_b32_e32 v31, 0, v2, vcc
	v_cndmask_b32_e32 v30, 7, v1, vcc
	v_cmp_ne_u64_e32 vcc, 0, v[30:31]
	v_cmp_ne_u32_e64 s[2:3], 0, v32
	s_or_b64 s[2:3], s[2:3], vcc
	v_mov_b32_e32 v1, v17
	v_mov_b32_e32 v2, v18
	s_and_saveexec_b64 s[14:15], s[2:3]
	s_xor_b64 s[2:3], exec, s[14:15]
; %bb.99:                               ;   in Loop: Header=BB18_35 Depth=2
	v_min_i32_e32 v1, 15, v32
	v_lshl_or_b32 v1, v1, 3, v17
	v_and_or_b32 v1, v30, 7, v1
; %bb.100:                              ;   in Loop: Header=BB18_35 Depth=2
	s_andn2_saveexec_b64 s[2:3], s[2:3]
	s_or_b64 exec, exec, s[2:3]
.LBB18_101:                             ;   in Loop: Header=BB18_35 Depth=2
	s_or_b64 exec, exec, s[12:13]
                                        ; implicit-def: $vgpr17
.LBB18_102:                             ;   in Loop: Header=BB18_35 Depth=2
	s_andn2_saveexec_b64 s[2:3], s[10:11]
; %bb.103:                              ;   in Loop: Header=BB18_35 Depth=2
	v_or_b32_e32 v1, 0x7e, v17
; %bb.104:                              ;   in Loop: Header=BB18_35 Depth=2
	s_or_b64 exec, exec, s[2:3]
                                        ; implicit-def: $vgpr30
.LBB18_105:                             ;   in Loop: Header=BB18_35 Depth=2
	s_andn2_saveexec_b64 s[2:3], s[8:9]
; %bb.106:                              ;   in Loop: Header=BB18_35 Depth=2
	v_or_b32_sdwa v1, v30, s91 dst_sel:DWORD dst_unused:UNUSED_PAD src0_sel:BYTE_3 src1_sel:DWORD
; %bb.107:                              ;   in Loop: Header=BB18_35 Depth=2
	s_or_b64 exec, exec, s[2:3]
	v_cvt_f32_f16_e32 v2, v3
	v_div_scale_f32 v11, s[2:3], s71, s71, v2
	v_div_scale_f32 v17, vcc, v2, s71, v2
	v_rcp_f32_e32 v30, v11
	v_fma_f32 v31, -v11, v30, 1.0
	v_fmac_f32_e32 v30, v31, v30
	v_mul_f32_e32 v31, v17, v30
	v_fma_f32 v32, -v11, v31, v17
	v_fmac_f32_e32 v31, v32, v30
	v_fma_f32 v11, -v11, v31, v17
	v_div_fmas_f32 v11, v11, v30, v31
                                        ; implicit-def: $vgpr30_vgpr31
	v_div_fixup_f32 v2, v11, s71, v2
	v_cvt_f16_f32_e32 v2, v2
	v_cvt_f32_f16_e32 v17, v2
	v_and_b32_e32 v11, 0x7f800000, v17
	v_cmp_ne_u64_e32 vcc, s[46:47], v[11:12]
	s_and_saveexec_b64 s[2:3], vcc
	s_xor_b64 s[8:9], exec, s[2:3]
	s_cbranch_execz .LBB18_123
; %bb.108:                              ;   in Loop: Header=BB18_35 Depth=2
	v_and_b32_e32 v11, 0x7fffffff, v17
	v_cmp_gt_u64_e32 vcc, s[48:49], v[11:12]
	v_and_b32_sdwa v2, v17, s87 dst_sel:DWORD dst_unused:UNUSED_PAD src0_sel:BYTE_3 src1_sel:DWORD
                                        ; implicit-def: $vgpr30_vgpr31
	s_and_saveexec_b64 s[2:3], vcc
	s_xor_b64 s[10:11], exec, s[2:3]
	s_cbranch_execz .LBB18_120
; %bb.109:                              ;   in Loop: Header=BB18_35 Depth=2
	v_mov_b32_e32 v30, 0
	v_cmp_ne_u32_e32 vcc, 0, v17
	v_mov_b32_e32 v31, 0
	s_and_saveexec_b64 s[12:13], vcc
	s_cbranch_execz .LBB18_119
; %bb.110:                              ;   in Loop: Header=BB18_35 Depth=2
	v_and_b32_e32 v11, 0x7fffff, v17
	v_bfe_u32 v17, v17, 23, 8
	v_sub_u32_e32 v30, 0x79, v17
	v_cmp_gt_u32_e32 vcc, s88, v17
	v_cndmask_b32_e32 v30, 0, v30, vcc
	v_cmp_eq_u32_e32 vcc, 0, v17
	v_cndmask_b32_e32 v33, v30, v49, vcc
	v_add_u32_e32 v30, 20, v33
	v_or_b32_e32 v32, 0x800000, v11
	v_lshlrev_b64 v[30:31], v30, -1
	v_cndmask_b32_e32 v11, v32, v11, vcc
	v_bfi_b32 v34, v30, 0, v11
	v_add_u32_e32 v30, 19, v33
	v_bfi_b32 v35, v31, 0, 0
	v_lshlrev_b64 v[38:39], v30, 1
	v_lshrrev_b64 v[30:31], v33, v[11:12]
	v_cmp_eq_u64_e64 s[2:3], v[34:35], v[38:39]
	v_mov_b32_e32 v32, v31
	v_mov_b32_e32 v31, v30
	s_and_saveexec_b64 s[14:15], s[2:3]
; %bb.111:                              ;   in Loop: Header=BB18_35 Depth=2
	v_bfe_u32 v11, v30, 20, 1
	v_add_co_u32_e64 v11, s[2:3], v30, v11
	v_add_co_u32_e64 v31, s[2:3], -1, v11
; %bb.112:                              ;   in Loop: Header=BB18_35 Depth=2
	s_or_b64 exec, exec, s[14:15]
	v_add_u32_e32 v11, 0xffffff81, v17
	v_cndmask_b32_e32 v11, v11, v50, vcc
	v_lshrrev_b32_e32 v17, 23, v30
	v_add3_u32 v33, v33, v11, v17
	v_add_u32_e32 v32, 6, v33
	v_and_b32_e32 v11, 0xfffff, v31
	v_add_u32_e32 v11, v11, v30
	v_cmp_ne_u32_e32 vcc, 0, v32
                                        ; implicit-def: $vgpr30_vgpr31
                                        ; implicit-def: $vgpr17
	s_and_saveexec_b64 s[2:3], vcc
	s_xor_b64 s[2:3], exec, s[2:3]
; %bb.113:                              ;   in Loop: Header=BB18_35 Depth=2
	v_cmp_lt_u64_e32 vcc, s[50:51], v[11:12]
	v_add_u32_e32 v17, 7, v33
	v_cndmask_b32_e64 v30, 0, 1, vcc
	v_lshrrev_b64 v[30:31], v30, v[11:12]
	v_cndmask_b32_e32 v17, v32, v17, vcc
; %bb.114:                              ;   in Loop: Header=BB18_35 Depth=2
	s_andn2_saveexec_b64 s[2:3], s[2:3]
; %bb.115:                              ;   in Loop: Header=BB18_35 Depth=2
	v_mov_b32_e32 v31, v12
	v_bfe_u32 v17, v11, 23, 1
	v_mov_b32_e32 v30, v11
; %bb.116:                              ;   in Loop: Header=BB18_35 Depth=2
	s_or_b64 exec, exec, s[2:3]
	v_lshrrev_b64 v[30:31], 20, v[30:31]
	v_cmp_gt_i32_e32 vcc, 16, v17
	v_cndmask_b32_e32 v33, 0, v31, vcc
	v_cndmask_b32_e32 v32, 7, v30, vcc
	v_cmp_ne_u64_e32 vcc, 0, v[32:33]
	v_cmp_ne_u32_e64 s[2:3], 0, v17
	v_mov_b32_e32 v31, v3
	s_or_b64 s[2:3], s[2:3], vcc
	v_mov_b32_e32 v30, v2
	s_and_saveexec_b64 s[14:15], s[2:3]
	s_xor_b64 s[2:3], exec, s[14:15]
; %bb.117:                              ;   in Loop: Header=BB18_35 Depth=2
	v_min_i32_e32 v11, 15, v17
	v_lshl_or_b32 v2, v11, 3, v2
	v_and_or_b32 v30, v32, 7, v2
; %bb.118:                              ;   in Loop: Header=BB18_35 Depth=2
	s_andn2_saveexec_b64 s[2:3], s[2:3]
	s_or_b64 exec, exec, s[2:3]
.LBB18_119:                             ;   in Loop: Header=BB18_35 Depth=2
	s_or_b64 exec, exec, s[12:13]
                                        ; implicit-def: $vgpr2
.LBB18_120:                             ;   in Loop: Header=BB18_35 Depth=2
	s_andn2_saveexec_b64 s[2:3], s[10:11]
; %bb.121:                              ;   in Loop: Header=BB18_35 Depth=2
	v_or_b32_e32 v30, 0x7e, v2
; %bb.122:                              ;   in Loop: Header=BB18_35 Depth=2
	s_or_b64 exec, exec, s[2:3]
                                        ; implicit-def: $vgpr17
.LBB18_123:                             ;   in Loop: Header=BB18_35 Depth=2
	s_andn2_saveexec_b64 s[2:3], s[8:9]
; %bb.124:                              ;   in Loop: Header=BB18_35 Depth=2
	v_or_b32_sdwa v30, v17, s91 dst_sel:DWORD dst_unused:UNUSED_PAD src0_sel:BYTE_3 src1_sel:DWORD
; %bb.125:                              ;   in Loop: Header=BB18_35 Depth=2
	s_or_b64 exec, exec, s[2:3]
	v_cvt_f32_f16_sdwa v2, v3 dst_sel:DWORD dst_unused:UNUSED_PAD src0_sel:WORD_1
	v_div_scale_f32 v3, s[2:3], s71, s71, v2
	v_div_scale_f32 v11, vcc, v2, s71, v2
	v_rcp_f32_e32 v17, v3
	v_fma_f32 v31, -v3, v17, 1.0
	v_fmac_f32_e32 v17, v31, v17
	v_mul_f32_e32 v31, v11, v17
	v_fma_f32 v32, -v3, v31, v11
	v_fmac_f32_e32 v31, v32, v17
	v_fma_f32 v3, -v3, v31, v11
	v_div_fmas_f32 v3, v3, v17, v31
	v_div_fixup_f32 v2, v3, s71, v2
	v_cvt_f16_f32_e32 v2, v2
	v_cvt_f32_f16_e32 v31, v2
                                        ; implicit-def: $vgpr2_vgpr3
	v_and_b32_e32 v11, 0x7f800000, v31
	v_cmp_ne_u64_e32 vcc, s[46:47], v[11:12]
	s_and_saveexec_b64 s[2:3], vcc
	s_xor_b64 s[8:9], exec, s[2:3]
	s_cbranch_execz .LBB18_141
; %bb.126:                              ;   in Loop: Header=BB18_35 Depth=2
	v_and_b32_e32 v11, 0x7fffffff, v31
	v_cmp_gt_u64_e32 vcc, s[48:49], v[11:12]
	v_and_b32_sdwa v17, v31, s87 dst_sel:DWORD dst_unused:UNUSED_PAD src0_sel:BYTE_3 src1_sel:DWORD
                                        ; implicit-def: $vgpr2_vgpr3
	s_and_saveexec_b64 s[2:3], vcc
	s_xor_b64 s[10:11], exec, s[2:3]
	s_cbranch_execz .LBB18_138
; %bb.127:                              ;   in Loop: Header=BB18_35 Depth=2
	v_mov_b32_e32 v2, 0
	v_cmp_ne_u32_e32 vcc, 0, v31
	v_mov_b32_e32 v3, 0
	s_and_saveexec_b64 s[12:13], vcc
	s_cbranch_execz .LBB18_137
; %bb.128:                              ;   in Loop: Header=BB18_35 Depth=2
	v_bfe_u32 v33, v31, 23, 8
	v_sub_u32_e32 v2, 0x79, v33
	v_cmp_gt_u32_e32 vcc, s88, v33
	v_cndmask_b32_e32 v2, 0, v2, vcc
	v_cmp_eq_u32_e32 vcc, 0, v33
	v_cndmask_b32_e32 v34, v2, v49, vcc
	v_and_b32_e32 v11, 0x7fffff, v31
	v_add_u32_e32 v2, 20, v34
	v_or_b32_e32 v31, 0x800000, v11
	v_lshlrev_b64 v[2:3], v2, -1
	v_cndmask_b32_e32 v11, v31, v11, vcc
	v_bfi_b32 v31, v2, 0, v11
	v_add_u32_e32 v2, 19, v34
	v_bfi_b32 v32, v3, 0, 0
	v_lshlrev_b64 v[38:39], v2, 1
	v_lshrrev_b64 v[2:3], v34, v[11:12]
	v_cmp_eq_u64_e64 s[2:3], v[31:32], v[38:39]
	v_mov_b32_e32 v32, v3
	v_mov_b32_e32 v31, v2
	s_and_saveexec_b64 s[14:15], s[2:3]
; %bb.129:                              ;   in Loop: Header=BB18_35 Depth=2
	v_bfe_u32 v3, v2, 20, 1
	v_add_co_u32_e64 v3, s[2:3], v2, v3
	v_add_co_u32_e64 v31, s[2:3], -1, v3
; %bb.130:                              ;   in Loop: Header=BB18_35 Depth=2
	s_or_b64 exec, exec, s[14:15]
	v_add_u32_e32 v3, 0xffffff81, v33
	v_cndmask_b32_e32 v3, v3, v50, vcc
	v_lshrrev_b32_e32 v11, 23, v2
	v_add3_u32 v34, v34, v3, v11
	v_add_u32_e32 v32, 6, v34
	v_and_b32_e32 v3, 0xfffff, v31
	v_add_u32_e32 v11, v3, v2
	v_cmp_ne_u32_e32 vcc, 0, v32
                                        ; implicit-def: $vgpr2_vgpr3
                                        ; implicit-def: $vgpr33
	s_and_saveexec_b64 s[2:3], vcc
	s_xor_b64 s[2:3], exec, s[2:3]
; %bb.131:                              ;   in Loop: Header=BB18_35 Depth=2
	v_cmp_lt_u64_e32 vcc, s[50:51], v[11:12]
	v_add_u32_e32 v2, 7, v34
	v_cndmask_b32_e32 v33, v32, v2, vcc
	v_cndmask_b32_e64 v2, 0, 1, vcc
	v_lshrrev_b64 v[2:3], v2, v[11:12]
; %bb.132:                              ;   in Loop: Header=BB18_35 Depth=2
	s_andn2_saveexec_b64 s[2:3], s[2:3]
; %bb.133:                              ;   in Loop: Header=BB18_35 Depth=2
	v_mov_b32_e32 v2, v11
	v_bfe_u32 v33, v11, 23, 1
	v_mov_b32_e32 v3, v12
; %bb.134:                              ;   in Loop: Header=BB18_35 Depth=2
	s_or_b64 exec, exec, s[2:3]
	v_lshrrev_b64 v[2:3], 20, v[2:3]
	v_cmp_gt_i32_e32 vcc, 16, v33
	v_cndmask_b32_e32 v32, 0, v3, vcc
	v_cndmask_b32_e32 v31, 7, v2, vcc
	v_cmp_ne_u64_e32 vcc, 0, v[31:32]
	v_cmp_ne_u32_e64 s[2:3], 0, v33
	s_or_b64 s[2:3], s[2:3], vcc
	v_mov_b32_e32 v2, v17
	v_mov_b32_e32 v3, v18
	s_and_saveexec_b64 s[14:15], s[2:3]
	s_xor_b64 s[2:3], exec, s[14:15]
; %bb.135:                              ;   in Loop: Header=BB18_35 Depth=2
	v_min_i32_e32 v2, 15, v33
	v_lshl_or_b32 v2, v2, 3, v17
	v_and_or_b32 v2, v31, 7, v2
; %bb.136:                              ;   in Loop: Header=BB18_35 Depth=2
	s_andn2_saveexec_b64 s[2:3], s[2:3]
	s_or_b64 exec, exec, s[2:3]
.LBB18_137:                             ;   in Loop: Header=BB18_35 Depth=2
	s_or_b64 exec, exec, s[12:13]
                                        ; implicit-def: $vgpr17
.LBB18_138:                             ;   in Loop: Header=BB18_35 Depth=2
	s_andn2_saveexec_b64 s[2:3], s[10:11]
; %bb.139:                              ;   in Loop: Header=BB18_35 Depth=2
	v_or_b32_e32 v2, 0x7e, v17
; %bb.140:                              ;   in Loop: Header=BB18_35 Depth=2
	s_or_b64 exec, exec, s[2:3]
                                        ; implicit-def: $vgpr31
.LBB18_141:                             ;   in Loop: Header=BB18_35 Depth=2
	s_andn2_saveexec_b64 s[2:3], s[8:9]
; %bb.142:                              ;   in Loop: Header=BB18_35 Depth=2
	v_or_b32_sdwa v2, v31, s91 dst_sel:DWORD dst_unused:UNUSED_PAD src0_sel:BYTE_3 src1_sel:DWORD
; %bb.143:                              ;   in Loop: Header=BB18_35 Depth=2
	s_or_b64 exec, exec, s[2:3]
	v_cvt_f32_f16_e32 v3, v4
	v_div_scale_f32 v11, s[2:3], s71, s71, v3
	v_div_scale_f32 v17, vcc, v3, s71, v3
	v_rcp_f32_e32 v31, v11
	v_fma_f32 v32, -v11, v31, 1.0
	v_fmac_f32_e32 v31, v32, v31
	v_mul_f32_e32 v32, v17, v31
	v_fma_f32 v33, -v11, v32, v17
	v_fmac_f32_e32 v32, v33, v31
	v_fma_f32 v11, -v11, v32, v17
	v_div_fmas_f32 v11, v11, v31, v32
                                        ; implicit-def: $vgpr31_vgpr32
	v_div_fixup_f32 v3, v11, s71, v3
	v_cvt_f16_f32_e32 v3, v3
	v_cvt_f32_f16_e32 v17, v3
	v_and_b32_e32 v11, 0x7f800000, v17
	v_cmp_ne_u64_e32 vcc, s[46:47], v[11:12]
	s_and_saveexec_b64 s[2:3], vcc
	s_xor_b64 s[8:9], exec, s[2:3]
	s_cbranch_execz .LBB18_159
; %bb.144:                              ;   in Loop: Header=BB18_35 Depth=2
	v_and_b32_e32 v11, 0x7fffffff, v17
	v_cmp_gt_u64_e32 vcc, s[48:49], v[11:12]
	v_and_b32_sdwa v3, v17, s87 dst_sel:DWORD dst_unused:UNUSED_PAD src0_sel:BYTE_3 src1_sel:DWORD
                                        ; implicit-def: $vgpr31_vgpr32
	s_and_saveexec_b64 s[2:3], vcc
	s_xor_b64 s[10:11], exec, s[2:3]
	s_cbranch_execz .LBB18_156
; %bb.145:                              ;   in Loop: Header=BB18_35 Depth=2
	v_mov_b32_e32 v31, 0
	v_cmp_ne_u32_e32 vcc, 0, v17
	v_mov_b32_e32 v32, 0
	s_and_saveexec_b64 s[12:13], vcc
	s_cbranch_execz .LBB18_155
; %bb.146:                              ;   in Loop: Header=BB18_35 Depth=2
	v_and_b32_e32 v11, 0x7fffff, v17
	v_bfe_u32 v17, v17, 23, 8
	v_sub_u32_e32 v31, 0x79, v17
	v_cmp_gt_u32_e32 vcc, s88, v17
	v_cndmask_b32_e32 v31, 0, v31, vcc
	v_cmp_eq_u32_e32 vcc, 0, v17
	v_cndmask_b32_e32 v34, v31, v49, vcc
	v_add_u32_e32 v31, 20, v34
	v_or_b32_e32 v33, 0x800000, v11
	v_lshlrev_b64 v[31:32], v31, -1
	v_cndmask_b32_e32 v11, v33, v11, vcc
	v_bfi_b32 v38, v31, 0, v11
	v_add_u32_e32 v31, 19, v34
	v_bfi_b32 v39, v32, 0, 0
	v_lshlrev_b64 v[40:41], v31, 1
	v_lshrrev_b64 v[31:32], v34, v[11:12]
	v_cmp_eq_u64_e64 s[2:3], v[38:39], v[40:41]
	v_mov_b32_e32 v33, v32
	v_mov_b32_e32 v32, v31
	s_and_saveexec_b64 s[14:15], s[2:3]
; %bb.147:                              ;   in Loop: Header=BB18_35 Depth=2
	v_bfe_u32 v11, v31, 20, 1
	v_add_co_u32_e64 v11, s[2:3], v31, v11
	v_add_co_u32_e64 v32, s[2:3], -1, v11
; %bb.148:                              ;   in Loop: Header=BB18_35 Depth=2
	s_or_b64 exec, exec, s[14:15]
	v_add_u32_e32 v11, 0xffffff81, v17
	v_cndmask_b32_e32 v11, v11, v50, vcc
	v_lshrrev_b32_e32 v17, 23, v31
	v_add3_u32 v34, v34, v11, v17
	v_add_u32_e32 v33, 6, v34
	v_and_b32_e32 v11, 0xfffff, v32
	v_add_u32_e32 v11, v11, v31
	v_cmp_ne_u32_e32 vcc, 0, v33
                                        ; implicit-def: $vgpr31_vgpr32
                                        ; implicit-def: $vgpr17
	s_and_saveexec_b64 s[2:3], vcc
	s_xor_b64 s[2:3], exec, s[2:3]
; %bb.149:                              ;   in Loop: Header=BB18_35 Depth=2
	v_cmp_lt_u64_e32 vcc, s[50:51], v[11:12]
	v_add_u32_e32 v17, 7, v34
	v_cndmask_b32_e64 v31, 0, 1, vcc
	v_lshrrev_b64 v[31:32], v31, v[11:12]
	v_cndmask_b32_e32 v17, v33, v17, vcc
; %bb.150:                              ;   in Loop: Header=BB18_35 Depth=2
	s_andn2_saveexec_b64 s[2:3], s[2:3]
; %bb.151:                              ;   in Loop: Header=BB18_35 Depth=2
	v_mov_b32_e32 v32, v12
	v_bfe_u32 v17, v11, 23, 1
	v_mov_b32_e32 v31, v11
; %bb.152:                              ;   in Loop: Header=BB18_35 Depth=2
	s_or_b64 exec, exec, s[2:3]
	v_lshrrev_b64 v[31:32], 20, v[31:32]
	v_cmp_gt_i32_e32 vcc, 16, v17
	v_cndmask_b32_e32 v34, 0, v32, vcc
	v_cndmask_b32_e32 v33, 7, v31, vcc
	v_cmp_ne_u64_e32 vcc, 0, v[33:34]
	v_cmp_ne_u32_e64 s[2:3], 0, v17
	v_mov_b32_e32 v32, v4
	s_or_b64 s[2:3], s[2:3], vcc
	v_mov_b32_e32 v31, v3
	s_and_saveexec_b64 s[14:15], s[2:3]
	s_xor_b64 s[2:3], exec, s[14:15]
; %bb.153:                              ;   in Loop: Header=BB18_35 Depth=2
	v_min_i32_e32 v11, 15, v17
	v_lshl_or_b32 v3, v11, 3, v3
	v_and_or_b32 v31, v33, 7, v3
; %bb.154:                              ;   in Loop: Header=BB18_35 Depth=2
	s_andn2_saveexec_b64 s[2:3], s[2:3]
	s_or_b64 exec, exec, s[2:3]
.LBB18_155:                             ;   in Loop: Header=BB18_35 Depth=2
	s_or_b64 exec, exec, s[12:13]
                                        ; implicit-def: $vgpr3
.LBB18_156:                             ;   in Loop: Header=BB18_35 Depth=2
	s_andn2_saveexec_b64 s[2:3], s[10:11]
; %bb.157:                              ;   in Loop: Header=BB18_35 Depth=2
	v_or_b32_e32 v31, 0x7e, v3
; %bb.158:                              ;   in Loop: Header=BB18_35 Depth=2
	s_or_b64 exec, exec, s[2:3]
                                        ; implicit-def: $vgpr17
.LBB18_159:                             ;   in Loop: Header=BB18_35 Depth=2
	s_andn2_saveexec_b64 s[2:3], s[8:9]
; %bb.160:                              ;   in Loop: Header=BB18_35 Depth=2
	v_or_b32_sdwa v31, v17, s91 dst_sel:DWORD dst_unused:UNUSED_PAD src0_sel:BYTE_3 src1_sel:DWORD
; %bb.161:                              ;   in Loop: Header=BB18_35 Depth=2
	s_or_b64 exec, exec, s[2:3]
	v_cvt_f32_f16_sdwa v3, v4 dst_sel:DWORD dst_unused:UNUSED_PAD src0_sel:WORD_1
	v_div_scale_f32 v4, s[2:3], s71, s71, v3
	v_div_scale_f32 v11, vcc, v3, s71, v3
	v_rcp_f32_e32 v17, v4
	v_fma_f32 v32, -v4, v17, 1.0
	v_fmac_f32_e32 v17, v32, v17
	v_mul_f32_e32 v32, v11, v17
	v_fma_f32 v33, -v4, v32, v11
	v_fmac_f32_e32 v32, v33, v17
	v_fma_f32 v4, -v4, v32, v11
	v_div_fmas_f32 v4, v4, v17, v32
                                        ; implicit-def: $vgpr32_vgpr33
	v_div_fixup_f32 v3, v4, s71, v3
	v_cvt_f16_f32_e32 v3, v3
	v_cvt_f32_f16_e32 v4, v3
	v_and_b32_e32 v11, 0x7f800000, v4
	v_cmp_ne_u64_e32 vcc, s[46:47], v[11:12]
	s_and_saveexec_b64 s[2:3], vcc
	s_xor_b64 s[8:9], exec, s[2:3]
	s_cbranch_execz .LBB18_177
; %bb.162:                              ;   in Loop: Header=BB18_35 Depth=2
	v_and_b32_e32 v11, 0x7fffffff, v4
	v_cmp_gt_u64_e32 vcc, s[48:49], v[11:12]
	v_and_b32_sdwa v3, v4, s87 dst_sel:DWORD dst_unused:UNUSED_PAD src0_sel:BYTE_3 src1_sel:DWORD
                                        ; implicit-def: $vgpr32_vgpr33
	s_and_saveexec_b64 s[2:3], vcc
	s_xor_b64 s[10:11], exec, s[2:3]
	s_cbranch_execz .LBB18_174
; %bb.163:                              ;   in Loop: Header=BB18_35 Depth=2
	v_mov_b32_e32 v32, 0
	v_cmp_ne_u32_e32 vcc, 0, v4
	v_mov_b32_e32 v33, 0
	s_and_saveexec_b64 s[12:13], vcc
	s_cbranch_execz .LBB18_173
; %bb.164:                              ;   in Loop: Header=BB18_35 Depth=2
	v_and_b32_e32 v11, 0x7fffff, v4
	v_bfe_u32 v4, v4, 23, 8
	v_sub_u32_e32 v17, 0x79, v4
	v_cmp_gt_u32_e32 vcc, s88, v4
	v_cndmask_b32_e32 v17, 0, v17, vcc
	v_cmp_eq_u32_e32 vcc, 0, v4
	v_cndmask_b32_e32 v17, v17, v49, vcc
	v_add_u32_e32 v32, 20, v17
	v_or_b32_e32 v34, 0x800000, v11
	v_lshlrev_b64 v[32:33], v32, -1
	v_cndmask_b32_e32 v11, v34, v11, vcc
	v_bfi_b32 v34, v32, 0, v11
	v_add_u32_e32 v32, 19, v17
	v_bfi_b32 v35, v33, 0, 0
	v_lshlrev_b64 v[38:39], v32, 1
	v_lshrrev_b64 v[32:33], v17, v[11:12]
	v_cmp_eq_u64_e64 s[2:3], v[34:35], v[38:39]
	v_mov_b32_e32 v34, v33
	v_mov_b32_e32 v33, v32
	s_and_saveexec_b64 s[14:15], s[2:3]
; %bb.165:                              ;   in Loop: Header=BB18_35 Depth=2
	v_bfe_u32 v11, v32, 20, 1
	v_add_co_u32_e64 v11, s[2:3], v32, v11
	v_add_co_u32_e64 v33, s[2:3], -1, v11
; %bb.166:                              ;   in Loop: Header=BB18_35 Depth=2
	s_or_b64 exec, exec, s[14:15]
	v_add_u32_e32 v4, 0xffffff81, v4
	v_cndmask_b32_e32 v4, v4, v50, vcc
	v_lshrrev_b32_e32 v11, 23, v32
	v_add3_u32 v34, v17, v4, v11
	v_add_u32_e32 v17, 6, v34
	v_and_b32_e32 v4, 0xfffff, v33
	v_add_u32_e32 v11, v4, v32
	v_cmp_ne_u32_e32 vcc, 0, v17
                                        ; implicit-def: $vgpr32_vgpr33
                                        ; implicit-def: $vgpr4
	s_and_saveexec_b64 s[2:3], vcc
	s_xor_b64 s[2:3], exec, s[2:3]
; %bb.167:                              ;   in Loop: Header=BB18_35 Depth=2
	v_cmp_lt_u64_e32 vcc, s[50:51], v[11:12]
	v_add_u32_e32 v4, 7, v34
	v_cndmask_b32_e32 v4, v17, v4, vcc
	v_cndmask_b32_e64 v17, 0, 1, vcc
	v_lshrrev_b64 v[32:33], v17, v[11:12]
; %bb.168:                              ;   in Loop: Header=BB18_35 Depth=2
	s_andn2_saveexec_b64 s[2:3], s[2:3]
; %bb.169:                              ;   in Loop: Header=BB18_35 Depth=2
	v_mov_b32_e32 v33, v12
	v_bfe_u32 v4, v11, 23, 1
	v_mov_b32_e32 v32, v11
; %bb.170:                              ;   in Loop: Header=BB18_35 Depth=2
	s_or_b64 exec, exec, s[2:3]
	v_lshrrev_b64 v[32:33], 20, v[32:33]
	v_cmp_gt_i32_e32 vcc, 16, v4
	v_cndmask_b32_e32 v35, 0, v33, vcc
	v_cndmask_b32_e32 v34, 7, v32, vcc
	v_cmp_ne_u64_e32 vcc, 0, v[34:35]
	v_cmp_ne_u32_e64 s[2:3], 0, v4
	v_mov_b32_e32 v33, v4
	s_or_b64 s[2:3], s[2:3], vcc
	v_mov_b32_e32 v32, v3
	s_and_saveexec_b64 s[14:15], s[2:3]
	s_xor_b64 s[2:3], exec, s[14:15]
; %bb.171:                              ;   in Loop: Header=BB18_35 Depth=2
	v_min_i32_e32 v4, 15, v4
	v_lshl_or_b32 v3, v4, 3, v3
	v_and_or_b32 v32, v34, 7, v3
; %bb.172:                              ;   in Loop: Header=BB18_35 Depth=2
	s_andn2_saveexec_b64 s[2:3], s[2:3]
	s_or_b64 exec, exec, s[2:3]
.LBB18_173:                             ;   in Loop: Header=BB18_35 Depth=2
	s_or_b64 exec, exec, s[12:13]
                                        ; implicit-def: $vgpr3
.LBB18_174:                             ;   in Loop: Header=BB18_35 Depth=2
	s_andn2_saveexec_b64 s[2:3], s[10:11]
; %bb.175:                              ;   in Loop: Header=BB18_35 Depth=2
	v_or_b32_e32 v32, 0x7e, v3
; %bb.176:                              ;   in Loop: Header=BB18_35 Depth=2
	s_or_b64 exec, exec, s[2:3]
                                        ; implicit-def: $vgpr4
.LBB18_177:                             ;   in Loop: Header=BB18_35 Depth=2
	s_andn2_saveexec_b64 s[2:3], s[8:9]
	s_cbranch_execz .LBB18_34
; %bb.178:                              ;   in Loop: Header=BB18_35 Depth=2
	v_or_b32_sdwa v32, v4, s91 dst_sel:DWORD dst_unused:UNUSED_PAD src0_sel:BYTE_3 src1_sel:DWORD
	s_branch .LBB18_34
.LBB18_179:                             ;   in Loop: Header=BB18_9 Depth=1
	s_or_b64 exec, exec, s[4:5]
	v_lshlrev_b32_e32 v2, 3, v56
	v_add_u32_e32 v1, v2, v37
	v_cmp_lt_i32_e32 vcc, v1, v51
	s_and_saveexec_b64 s[56:57], vcc
	s_cbranch_execz .LBB18_207
; %bb.180:                              ;   in Loop: Header=BB18_9 Depth=1
	v_add_u32_e32 v3, v59, v2
	v_max_i32_e32 v3, v3, v51
	v_add_u32_e32 v3, v3, v62
	v_sub_u32_e32 v2, v3, v2
	v_cmp_lt_u32_e32 vcc, 31, v2
	s_mov_b64 s[2:3], -1
	s_and_saveexec_b64 s[58:59], vcc
	s_cbranch_execz .LBB18_184
; %bb.181:                              ;   in Loop: Header=BB18_9 Depth=1
	v_lshrrev_b32_e32 v2, 5, v2
	v_add_co_u32_e32 v10, vcc, v52, v22
	v_add_u32_e32 v4, 1, v2
	v_addc_co_u32_e32 v30, vcc, v53, v23, vcc
	v_add_u32_e32 v2, 32, v1
	v_add_co_u32_e32 v31, vcc, v54, v20
	v_and_b32_e32 v17, 0xffffffe, v4
	v_mov_b32_e32 v3, v2
	v_mov_b32_e32 v48, v46
	;; [unrolled: 1-line block ×4, first 2 shown]
	v_addc_co_u32_e32 v32, vcc, v55, v21, vcc
	s_mov_b64 s[60:61], 0
	v_mov_b32_e32 v33, v17
	v_mov_b32_e32 v2, v1
.LBB18_182:                             ;   Parent Loop BB18_9 Depth=1
                                        ; =>  This Inner Loop Header: Depth=2
	v_ashrrev_i32_e32 v35, 31, v2
	v_add_co_u32_e32 v24, vcc, v31, v2
	v_mov_b32_e32 v34, v2
	v_addc_co_u32_e32 v25, vcc, v32, v35, vcc
	v_ashrrev_i32_e32 v29, 31, v3
	v_add_co_u32_e32 v26, vcc, v31, v3
	v_lshlrev_b64 v[34:35], 1, v[34:35]
	v_mov_b32_e32 v28, v3
	v_addc_co_u32_e32 v27, vcc, v32, v29, vcc
	v_add_co_u32_e32 v34, vcc, v10, v34
	v_lshlrev_b64 v[28:29], 1, v[28:29]
	v_addc_co_u32_e32 v35, vcc, v30, v35, vcc
	v_add_co_u32_e32 v28, vcc, v10, v28
	v_addc_co_u32_e32 v29, vcc, v30, v29, vcc
	global_load_ushort v11, v[34:35], off
	s_nop 0
	global_load_ushort v28, v[28:29], off
	v_add_u32_e32 v33, -2, v33
	v_add_u32_e32 v3, 64, v3
	v_add_u32_e32 v2, 64, v2
	s_waitcnt vmcnt(1)
	v_cvt_f32_f16_e32 v11, v11
	s_waitcnt vmcnt(0)
	v_cvt_f32_f16_e32 v28, v28
	v_div_scale_f32 v29, s[2:3], s78, s78, v28
	v_rcp_f32_e32 v34, v29
	v_fma_f32 v35, -v29, v34, 1.0
	v_fmac_f32_e32 v34, v35, v34
	v_div_scale_f32 v35, vcc, v28, s78, v28
	v_mul_f32_e32 v38, v35, v34
	v_fma_f32 v39, -v29, v38, v35
	v_fmac_f32_e32 v38, v39, v34
	v_fma_f32 v29, -v29, v38, v35
	v_div_fmas_f32 v29, v29, v34, v38
	v_div_fixup_f32 v28, v29, s78, v28
	v_div_scale_f32 v29, s[2:3], s71, s71, v11
	v_cvt_f16_f32_e32 v28, v28
	v_rcp_f32_e32 v34, v29
	v_fma_f32 v35, -v29, v34, 1.0
	v_fmac_f32_e32 v34, v35, v34
	v_div_scale_f32 v35, vcc, v11, s71, v11
	v_mul_f32_e32 v38, v35, v34
	v_fma_f32 v39, -v29, v38, v35
	v_fmac_f32_e32 v38, v39, v34
	v_fma_f32 v29, -v29, v38, v35
	v_div_fmas_f32 v29, v29, v34, v38
	v_cvt_f32_f16_e32 v34, v28
	v_and_b32_e32 v39, 0x7f800000, v34
	v_lshrrev_b32_e32 v28, 23, v34
	v_cmp_ne_u32_e32 vcc, s86, v39
	v_cmp_eq_u32_sdwa s[16:17], v28, v12 src0_sel:BYTE_0 src1_sel:DWORD
	v_cmp_lt_u32_sdwa s[22:23], v28, s88 src0_sel:BYTE_0 src1_sel:DWORD
	v_cmp_ne_u32_e64 s[14:15], 0, v34
	v_and_b32_sdwa v52, v34, s87 dst_sel:DWORD dst_unused:UNUSED_PAD src0_sel:BYTE_3 src1_sel:DWORD
	v_cmp_eq_u32_e64 s[8:9], 0, v34
	v_div_fixup_f32 v11, v29, s71, v11
	v_cvt_f16_f32_e32 v11, v11
	v_cvt_f32_f16_e32 v35, v11
	v_and_b32_e32 v11, 0x7fffff, v34
	v_or_b32_e32 v41, 0x800000, v11
	v_and_b32_e32 v40, 0x7f800000, v35
	v_and_b32_e32 v39, 0x7fffffff, v35
	v_lshrrev_b32_e32 v38, 23, v35
	v_cmp_ne_u32_e64 s[2:3], s86, v40
	v_and_b32_e32 v40, 0x7fffffff, v34
	v_cmp_gt_u32_e64 s[6:7], s94, v39
	v_add_u32_sdwa v39, v28, s90 dst_sel:DWORD dst_unused:UNUSED_PAD src0_sel:BYTE_0 src1_sel:DWORD
	v_sub_u32_sdwa v28, s89, v28 dst_sel:DWORD dst_unused:UNUSED_PAD src0_sel:DWORD src1_sel:BYTE_0
	v_cmp_gt_u32_e64 s[4:5], s94, v40
	v_cmp_eq_u32_sdwa s[18:19], v38, v12 src0_sel:BYTE_0 src1_sel:DWORD
	v_add_u32_sdwa v40, v38, s90 dst_sel:DWORD dst_unused:UNUSED_PAD src0_sel:BYTE_0 src1_sel:DWORD
	v_cmp_lt_u32_sdwa s[20:21], v38, s88 src0_sel:BYTE_0 src1_sel:DWORD
	v_sub_u32_sdwa v38, s89, v38 dst_sel:DWORD dst_unused:UNUSED_PAD src0_sel:DWORD src1_sel:BYTE_0
	v_cndmask_b32_e64 v28, 0, v28, s[22:23]
	v_cndmask_b32_e64 v38, 0, v38, s[20:21]
	;; [unrolled: 1-line block ×3, first 2 shown]
	v_and_b32_e32 v29, 0x7fffff, v35
	v_cndmask_b32_e64 v56, v38, v49, s[18:19]
	v_add_u32_e32 v38, 20, v57
	v_or_b32_e32 v58, 0x800000, v29
	v_cndmask_b32_e64 v55, v39, v50, s[16:17]
	v_add_u32_e32 v39, 20, v56
	v_lshlrev_b64 v[60:61], v38, -1
	v_add_u32_e32 v38, 19, v57
	v_cndmask_b32_e64 v54, v40, v50, s[18:19]
	v_cndmask_b32_e64 v28, v41, v11, s[16:17]
	;; [unrolled: 1-line block ×3, first 2 shown]
	v_lshlrev_b64 v[58:59], v39, -1
	v_add_u32_e32 v40, 19, v56
	v_lshlrev_b64 v[38:39], v38, 1
	v_mov_b32_e32 v29, v12
	v_bfi_b32 v61, v61, 0, 0
	v_bfi_b32 v60, v60, 0, v28
	v_lshlrev_b64 v[40:41], v40, 1
	v_bfi_b32 v59, v59, 0, 0
	v_bfi_b32 v58, v58, 0, v11
	v_cmp_ne_u64_e64 s[18:19], v[60:61], v[38:39]
	v_lshrrev_b64 v[38:39], v56, v[11:12]
	v_lshrrev_b64 v[28:29], v57, v[28:29]
	v_cmp_ne_u64_e64 s[16:17], v[58:59], v[40:41]
	v_cmp_ne_u32_e64 s[12:13], 0, v35
	v_lshrrev_b32_e32 v11, 23, v38
	v_lshrrev_b32_e32 v29, 23, v28
	v_add3_u32 v55, v57, v55, v29
	v_add3_u32 v56, v56, v54, v11
	v_bfe_u32 v11, v28, 20, 1
	v_bfe_u32 v29, v38, 20, 1
	s_and_b64 s[18:19], s[14:15], s[18:19]
	s_and_b64 s[16:17], s[12:13], s[16:17]
	v_add3_u32 v29, v38, v29, -1
	v_add3_u32 v11, v28, v11, -1
	s_and_b64 s[16:17], s[16:17], s[6:7]
	s_and_b64 s[18:19], s[18:19], s[4:5]
	v_cndmask_b32_e64 v11, v11, v28, s[18:19]
	v_cndmask_b32_e64 v29, v29, v38, s[16:17]
	v_and_b32_e32 v11, 0xfffff, v11
	v_and_b32_e32 v29, 0xfffff, v29
	v_add_u32_e32 v28, v11, v28
	v_add_u32_e32 v11, v29, v38
	v_mov_b32_e32 v29, v12
	v_cmp_lt_u64_e64 s[22:23], s[50:51], v[28:29]
	v_add_u32_e32 v57, 6, v55
	v_cmp_lt_u64_e64 s[20:21], s[50:51], v[11:12]
	v_add_u32_e32 v39, 7, v55
	v_lshrrev_b32_e32 v40, 23, v28
	v_add_u32_e32 v54, 6, v56
	v_cmp_ne_u32_e64 s[16:17], 0, v57
	v_add_u32_e32 v38, 7, v56
	v_cndmask_b32_e64 v39, v57, v39, s[22:23]
	v_lshrrev_b32_e32 v41, 23, v11
	v_and_b32_e32 v40, 1, v40
	v_cmp_ne_u32_e64 s[18:19], 0, v54
	v_cndmask_b32_e64 v38, v54, v38, s[20:21]
	v_and_b32_e32 v41, 1, v41
	v_cndmask_b32_e64 v40, v40, v39, s[16:17]
	s_and_b64 s[16:17], s[16:17], s[22:23]
	v_cndmask_b32_e64 v41, v41, v38, s[18:19]
	s_and_b64 s[18:19], s[18:19], s[20:21]
	v_cndmask_b32_e64 v39, 0, 1, s[16:17]
	v_cndmask_b32_e64 v38, 0, 1, s[18:19]
	v_lshrrev_b64 v[28:29], v39, v[28:29]
	v_lshrrev_b64 v[38:39], v38, v[11:12]
	v_lshrrev_b32_e32 v11, 20, v28
	v_cmp_gt_i32_e64 s[16:17], 16, v40
	v_lshrrev_b32_e32 v29, 20, v38
	v_cndmask_b32_e64 v11, 7, v11, s[16:17]
	v_cmp_gt_i32_e64 s[16:17], 16, v41
	v_cndmask_b32_e64 v28, 7, v29, s[16:17]
	v_mov_b32_e32 v29, v12
	v_min_i32_e32 v38, 15, v40
	s_and_b64 s[36:37], s[2:3], s[6:7]
	s_and_b64 s[82:83], vcc, s[4:5]
	v_cmp_eq_u32_e64 s[16:17], 0, v40
	v_cmp_eq_u32_e64 s[18:19], 0, v41
	v_cmp_eq_u64_e64 s[20:21], 0, v[28:29]
	v_cmp_eq_u64_e64 s[22:23], 0, v[11:12]
	v_min_i32_e32 v29, 15, v41
	v_lshlrev_b32_e32 v38, 3, v38
	s_and_b64 s[14:15], s[82:83], s[14:15]
	s_and_b64 s[12:13], s[36:37], s[12:13]
	v_and_b32_sdwa v53, v35, s87 dst_sel:DWORD dst_unused:UNUSED_PAD src0_sel:BYTE_3 src1_sel:DWORD
	v_lshlrev_b32_e32 v29, 3, v29
	v_or_b32_e32 v38, v38, v52
	s_and_b64 s[18:19], s[12:13], s[18:19]
	s_and_b64 s[12:13], s[14:15], s[16:17]
	v_or_b32_e32 v29, v29, v53
	v_and_or_b32 v11, v11, 7, v38
	s_and_b64 s[12:13], s[12:13], s[22:23]
	v_cmp_eq_u32_e64 s[10:11], 0, v35
	v_and_or_b32 v28, v28, 7, v29
	s_and_b64 s[14:15], s[18:19], s[20:21]
	s_and_b64 s[8:9], s[82:83], s[8:9]
	v_cndmask_b32_e64 v11, v11, v52, s[12:13]
	v_or_b32_e32 v29, 0x7e, v52
	s_and_b64 s[10:11], s[36:37], s[10:11]
	v_cndmask_b32_e64 v28, v28, v53, s[14:15]
	v_cndmask_b32_e64 v11, v11, 0, s[8:9]
	v_or_b32_e32 v38, 0x7e, v53
	v_or_b32_sdwa v34, v34, s91 dst_sel:DWORD dst_unused:UNUSED_PAD src0_sel:BYTE_3 src1_sel:DWORD
	v_cndmask_b32_e64 v28, v28, 0, s[10:11]
	v_cndmask_b32_e64 v11, v29, v11, s[4:5]
	v_or_b32_sdwa v35, v35, s91 dst_sel:DWORD dst_unused:UNUSED_PAD src0_sel:BYTE_3 src1_sel:DWORD
	v_cndmask_b32_e64 v28, v38, v28, s[6:7]
	v_cndmask_b32_e32 v11, v34, v11, vcc
	v_cmp_eq_u32_e32 vcc, 0, v33
	v_cndmask_b32_e64 v28, v35, v28, s[2:3]
	s_or_b64 s[60:61], vcc, s[60:61]
	global_store_byte v[24:25], v28, off
	global_store_byte v[26:27], v11, off
	s_andn2_b64 exec, exec, s[60:61]
	s_cbranch_execnz .LBB18_182
; %bb.183:                              ;   in Loop: Header=BB18_9 Depth=1
	s_or_b64 exec, exec, s[60:61]
	v_mov_b32_e32 v59, v45
	v_mov_b32_e32 v45, v46
	;; [unrolled: 1-line block ×3, first 2 shown]
	buffer_load_dword v48, off, s[96:99], 0 ; 4-byte Folded Reload
	buffer_load_dword v60, off, s[96:99], 0 offset:4 ; 4-byte Folded Reload
	buffer_load_dword v61, off, s[96:99], 0 offset:8 ; 4-byte Folded Reload
	v_cmp_ne_u32_e32 vcc, v4, v17
	v_lshl_add_u32 v1, v17, 5, v1
	s_orn2_b64 s[2:3], vcc, exec
.LBB18_184:                             ;   in Loop: Header=BB18_9 Depth=1
	s_or_b64 exec, exec, s[58:59]
	s_and_b64 exec, exec, s[2:3]
	s_cbranch_execz .LBB18_207
; %bb.185:                              ;   in Loop: Header=BB18_9 Depth=1
	v_ashrrev_i32_e32 v2, 31, v1
	v_lshlrev_b64 v[3:4], 1, v[1:2]
	v_mov_b32_e32 v10, s73
	v_add_co_u32_e32 v3, vcc, v22, v3
	v_addc_co_u32_e32 v4, vcc, v23, v4, vcc
	v_add_co_u32_e32 v3, vcc, v3, v13
	v_addc_co_u32_e32 v4, vcc, v4, v14, vcc
	;; [unrolled: 2-line block ×5, first 2 shown]
	s_mov_b64 s[4:5], 0
	s_branch .LBB18_187
.LBB18_186:                             ;   in Loop: Header=BB18_187 Depth=2
	s_or_b64 exec, exec, s[2:3]
	v_add_co_u32_e32 v3, vcc, 64, v3
	v_add_u32_e32 v1, 32, v1
	v_addc_co_u32_e32 v4, vcc, 0, v4, vcc
	v_cmp_ge_i32_e32 vcc, v1, v51
	global_store_byte v[20:21], v11, off
	s_or_b64 s[4:5], vcc, s[4:5]
	v_add_co_u32_e32 v20, vcc, 32, v20
	v_addc_co_u32_e32 v21, vcc, 0, v21, vcc
	s_andn2_b64 exec, exec, s[4:5]
	s_cbranch_execz .LBB18_207
.LBB18_187:                             ;   Parent Loop BB18_9 Depth=1
                                        ; =>  This Inner Loop Header: Depth=2
	global_load_ushort v2, v[3:4], off
	s_waitcnt vmcnt(0)
	v_cvt_f32_f16_e32 v2, v2
	v_div_scale_f32 v10, s[2:3], s71, s71, v2
	v_div_scale_f32 v11, vcc, v2, s71, v2
	v_rcp_f32_e32 v17, v10
	v_fma_f32 v22, -v10, v17, 1.0
	v_fmac_f32_e32 v17, v22, v17
	v_mul_f32_e32 v22, v11, v17
	v_fma_f32 v23, -v10, v22, v11
	v_fmac_f32_e32 v22, v23, v17
	v_fma_f32 v10, -v10, v22, v11
	v_div_fmas_f32 v10, v10, v17, v22
	v_div_fixup_f32 v2, v10, s71, v2
	v_cvt_f16_f32_e32 v2, v2
	v_cvt_f32_f16_e32 v10, v2
	v_and_b32_e32 v11, 0x7f800000, v10
	v_cmp_ne_u64_e32 vcc, s[46:47], v[11:12]
                                        ; implicit-def: $vgpr11
	s_and_saveexec_b64 s[2:3], vcc
	s_xor_b64 s[6:7], exec, s[2:3]
	s_cbranch_execz .LBB18_205
; %bb.188:                              ;   in Loop: Header=BB18_187 Depth=2
	v_and_b32_e32 v11, 0x7fffffff, v10
	v_cmp_gt_u64_e32 vcc, s[48:49], v[11:12]
	v_and_b32_sdwa v2, v10, s87 dst_sel:DWORD dst_unused:UNUSED_PAD src0_sel:BYTE_3 src1_sel:DWORD
                                        ; implicit-def: $vgpr11
	s_and_saveexec_b64 s[2:3], vcc
	s_xor_b64 s[8:9], exec, s[2:3]
	s_cbranch_execz .LBB18_202
; %bb.189:                              ;   in Loop: Header=BB18_187 Depth=2
	v_cmp_ne_u32_e32 vcc, 0, v10
	v_mov_b32_e32 v11, 0
	s_and_saveexec_b64 s[10:11], vcc
	s_cbranch_execz .LBB18_201
; %bb.190:                              ;   in Loop: Header=BB18_187 Depth=2
	v_bfe_u32 v17, v10, 23, 8
	v_and_b32_e32 v11, 0x7fffff, v10
	v_sub_u32_e32 v10, 0x79, v17
	v_cmp_gt_u32_e32 vcc, s88, v17
	v_cndmask_b32_e32 v10, 0, v10, vcc
	v_cmp_eq_u32_e32 vcc, 0, v17
	v_cndmask_b32_e32 v24, v10, v49, vcc
	v_add_u32_e32 v10, 20, v24
	v_or_b32_e32 v25, 0x800000, v11
	v_lshlrev_b64 v[22:23], v10, -1
	v_cndmask_b32_e32 v11, v25, v11, vcc
	v_add_u32_e32 v10, 19, v24
	v_bfi_b32 v22, v22, 0, v11
	v_lshlrev_b64 v[25:26], v10, 1
	v_lshrrev_b64 v[10:11], v24, v[11:12]
	v_bfi_b32 v23, v23, 0, 0
	v_cmp_eq_u64_e64 s[2:3], v[22:23], v[25:26]
	v_mov_b32_e32 v23, v11
	v_mov_b32_e32 v22, v10
	s_and_saveexec_b64 s[12:13], s[2:3]
; %bb.191:                              ;   in Loop: Header=BB18_187 Depth=2
	v_bfe_u32 v11, v10, 20, 1
	v_add_co_u32_e64 v11, s[2:3], v10, v11
	v_add_co_u32_e64 v22, s[2:3], -1, v11
; %bb.192:                              ;   in Loop: Header=BB18_187 Depth=2
	s_or_b64 exec, exec, s[12:13]
	v_add_u32_e32 v11, 0xffffff81, v17
	v_cndmask_b32_e32 v11, v11, v50, vcc
	v_lshrrev_b32_e32 v17, 23, v10
	v_add3_u32 v25, v24, v11, v17
	v_add_u32_e32 v24, 6, v25
	v_and_b32_e32 v11, 0xfffff, v22
	v_add_u32_e32 v11, v11, v10
	v_cmp_ne_u32_e32 vcc, 0, v24
                                        ; implicit-def: $vgpr22_vgpr23
                                        ; implicit-def: $vgpr17
	s_and_saveexec_b64 s[2:3], vcc
	s_xor_b64 s[2:3], exec, s[2:3]
; %bb.193:                              ;   in Loop: Header=BB18_187 Depth=2
	v_cmp_lt_u64_e32 vcc, s[50:51], v[11:12]
	v_add_u32_e32 v10, 7, v25
	v_cndmask_b32_e32 v17, v24, v10, vcc
	v_cndmask_b32_e64 v10, 0, 1, vcc
	v_lshrrev_b64 v[22:23], v10, v[11:12]
; %bb.194:                              ;   in Loop: Header=BB18_187 Depth=2
	s_andn2_saveexec_b64 s[2:3], s[2:3]
; %bb.195:                              ;   in Loop: Header=BB18_187 Depth=2
	v_mov_b32_e32 v23, v12
	v_bfe_u32 v17, v11, 23, 1
	v_mov_b32_e32 v22, v11
; %bb.196:                              ;   in Loop: Header=BB18_187 Depth=2
	s_or_b64 exec, exec, s[2:3]
	v_lshrrev_b64 v[10:11], 20, v[22:23]
	v_cmp_gt_i32_e32 vcc, 16, v17
	v_cndmask_b32_e32 v11, 0, v11, vcc
	v_cndmask_b32_e32 v10, 7, v10, vcc
	v_cmp_ne_u64_e32 vcc, 0, v[10:11]
	v_cmp_ne_u32_e64 s[2:3], 0, v17
	s_or_b64 s[2:3], s[2:3], vcc
                                        ; implicit-def: $vgpr11
	s_and_saveexec_b64 s[12:13], s[2:3]
	s_xor_b64 s[2:3], exec, s[12:13]
; %bb.197:                              ;   in Loop: Header=BB18_187 Depth=2
	v_min_i32_e32 v11, 15, v17
	v_lshl_or_b32 v2, v11, 3, v2
	v_and_or_b32 v11, v10, 7, v2
                                        ; implicit-def: $vgpr2
; %bb.198:                              ;   in Loop: Header=BB18_187 Depth=2
	s_andn2_saveexec_b64 s[2:3], s[2:3]
; %bb.199:                              ;   in Loop: Header=BB18_187 Depth=2
	v_mov_b32_e32 v11, v2
; %bb.200:                              ;   in Loop: Header=BB18_187 Depth=2
	s_or_b64 exec, exec, s[2:3]
.LBB18_201:                             ;   in Loop: Header=BB18_187 Depth=2
	s_or_b64 exec, exec, s[10:11]
                                        ; implicit-def: $vgpr2
.LBB18_202:                             ;   in Loop: Header=BB18_187 Depth=2
	s_andn2_saveexec_b64 s[2:3], s[8:9]
; %bb.203:                              ;   in Loop: Header=BB18_187 Depth=2
	v_or_b32_e32 v11, 0x7e, v2
; %bb.204:                              ;   in Loop: Header=BB18_187 Depth=2
	s_or_b64 exec, exec, s[2:3]
                                        ; implicit-def: $vgpr10
.LBB18_205:                             ;   in Loop: Header=BB18_187 Depth=2
	s_andn2_saveexec_b64 s[2:3], s[6:7]
	s_cbranch_execz .LBB18_186
; %bb.206:                              ;   in Loop: Header=BB18_187 Depth=2
	v_or_b32_sdwa v11, v10, s91 dst_sel:DWORD dst_unused:UNUSED_PAD src0_sel:BYTE_3 src1_sel:DWORD
	s_branch .LBB18_186
.LBB18_207:                             ;   in Loop: Header=BB18_9 Depth=1
	s_or_b64 exec, exec, s[56:57]
.LBB18_208:                             ;   in Loop: Header=BB18_9 Depth=1
	s_andn2_saveexec_b64 s[4:5], s[54:55]
	s_cbranch_execz .LBB18_357
; %bb.209:                              ;   in Loop: Header=BB18_9 Depth=1
	s_and_saveexec_b64 s[6:7], s[0:1]
	s_cbranch_execz .LBB18_356
; %bb.210:                              ;   in Loop: Header=BB18_9 Depth=1
	v_add_co_u32_e32 v20, vcc, v45, v13
	v_mov_b32_e32 v23, v6
	v_addc_co_u32_e32 v21, vcc, v46, v14, vcc
	s_mov_b64 s[8:9], 0
	v_mov_b32_e32 v22, v5
	v_mov_b32_e32 v32, v37
	s_branch .LBB18_212
.LBB18_211:                             ;   in Loop: Header=BB18_212 Depth=2
	s_or_b64 exec, exec, s[2:3]
	v_lshlrev_b32_e32 v4, 16, v27
	v_lshlrev_b32_e32 v3, 24, v28
	v_and_b32_e32 v4, 0xff0000, v4
	v_lshlrev_b32_e32 v2, 8, v2
	v_or_b32_e32 v3, v3, v4
	v_and_b32_e32 v2, 0xff00, v2
	v_and_b32_e32 v4, 0xff, v26
	v_or3_b32 v2, v3, v2, v4
	v_lshlrev_b32_e32 v3, 16, v25
	v_lshlrev_b32_e32 v4, 8, v24
	v_perm_b32 v1, v1, v3, s93
	v_and_or_b32 v1, v4, s92, v1
	v_or_b32_sdwa v1, v1, v10 dst_sel:DWORD dst_unused:UNUSED_PAD src0_sel:DWORD src1_sel:BYTE_0
	global_store_dwordx2 v[22:23], v[1:2], off
	v_add_co_u32_e32 v22, vcc, 0x100, v22
	v_add_u32_e32 v32, 32, v32
	v_addc_co_u32_e32 v23, vcc, 0, v23, vcc
	v_add_co_u32_e32 v20, vcc, 0x200, v20
	v_cmp_le_i32_e64 s[2:3], s77, v32
	s_or_b64 s[8:9], s[2:3], s[8:9]
	v_addc_co_u32_e32 v21, vcc, 0, v21, vcc
	s_andn2_b64 exec, exec, s[8:9]
	s_cbranch_execz .LBB18_356
.LBB18_212:                             ;   Parent Loop BB18_9 Depth=1
                                        ; =>  This Inner Loop Header: Depth=2
	global_load_dwordx4 v[1:4], v[20:21], off
	s_waitcnt vmcnt(0)
	v_cvt_f32_f16_e32 v10, v1
	v_div_scale_f32 v11, s[2:3], s71, s71, v10
	v_div_scale_f32 v17, vcc, v10, s71, v10
	v_rcp_f32_e32 v24, v11
	v_fma_f32 v25, -v11, v24, 1.0
	v_fmac_f32_e32 v24, v25, v24
	v_mul_f32_e32 v25, v17, v24
	v_fma_f32 v26, -v11, v25, v17
	v_fmac_f32_e32 v25, v26, v24
	v_fma_f32 v11, -v11, v25, v17
	v_div_fmas_f32 v11, v11, v24, v25
	v_div_fixup_f32 v10, v11, s71, v10
	v_cvt_f16_f32_e32 v10, v10
	v_cvt_f32_f16_e32 v24, v10
	v_and_b32_e32 v11, 0x7f800000, v24
	v_cmp_ne_u64_e32 vcc, s[46:47], v[11:12]
                                        ; implicit-def: $vgpr10_vgpr11
	s_and_saveexec_b64 s[2:3], vcc
	s_xor_b64 s[10:11], exec, s[2:3]
	s_cbranch_execz .LBB18_228
; %bb.213:                              ;   in Loop: Header=BB18_212 Depth=2
	v_and_b32_e32 v11, 0x7fffffff, v24
	v_cmp_gt_u64_e32 vcc, s[48:49], v[11:12]
	v_and_b32_sdwa v17, v24, s87 dst_sel:DWORD dst_unused:UNUSED_PAD src0_sel:BYTE_3 src1_sel:DWORD
                                        ; implicit-def: $vgpr10_vgpr11
	s_and_saveexec_b64 s[2:3], vcc
	s_xor_b64 s[12:13], exec, s[2:3]
	s_cbranch_execz .LBB18_225
; %bb.214:                              ;   in Loop: Header=BB18_212 Depth=2
	v_mov_b32_e32 v10, 0
	v_cmp_ne_u32_e32 vcc, 0, v24
	v_mov_b32_e32 v11, 0
	s_and_saveexec_b64 s[14:15], vcc
	s_cbranch_execz .LBB18_224
; %bb.215:                              ;   in Loop: Header=BB18_212 Depth=2
	v_bfe_u32 v26, v24, 23, 8
	v_sub_u32_e32 v11, 0x79, v26
	v_cmp_gt_u32_e32 vcc, s88, v26
	v_cndmask_b32_e32 v11, 0, v11, vcc
	v_cmp_eq_u32_e32 vcc, 0, v26
	v_cndmask_b32_e32 v27, v11, v49, vcc
	v_and_b32_e32 v10, 0x7fffff, v24
	v_add_u32_e32 v11, 20, v27
	v_or_b32_e32 v28, 0x800000, v10
	v_lshlrev_b64 v[24:25], v11, -1
	v_cndmask_b32_e32 v11, v28, v10, vcc
	v_add_u32_e32 v10, 19, v27
	v_bfi_b32 v24, v24, 0, v11
	v_lshlrev_b64 v[28:29], v10, 1
	v_lshrrev_b64 v[10:11], v27, v[11:12]
	v_bfi_b32 v25, v25, 0, 0
	v_cmp_eq_u64_e64 s[2:3], v[24:25], v[28:29]
	v_mov_b32_e32 v25, v11
	v_mov_b32_e32 v24, v10
	s_and_saveexec_b64 s[16:17], s[2:3]
; %bb.216:                              ;   in Loop: Header=BB18_212 Depth=2
	v_bfe_u32 v11, v10, 20, 1
	v_add_co_u32_e64 v11, s[2:3], v10, v11
	v_add_co_u32_e64 v24, s[2:3], -1, v11
; %bb.217:                              ;   in Loop: Header=BB18_212 Depth=2
	s_or_b64 exec, exec, s[16:17]
	v_add_u32_e32 v11, 0xffffff81, v26
	v_cndmask_b32_e32 v11, v11, v50, vcc
	v_lshrrev_b32_e32 v25, 23, v10
	v_add3_u32 v28, v27, v11, v25
	v_add_u32_e32 v27, 6, v28
	v_and_b32_e32 v11, 0xfffff, v24
	v_add_u32_e32 v11, v11, v10
	v_cmp_ne_u32_e32 vcc, 0, v27
                                        ; implicit-def: $vgpr24_vgpr25
                                        ; implicit-def: $vgpr26
	s_and_saveexec_b64 s[2:3], vcc
	s_xor_b64 s[2:3], exec, s[2:3]
; %bb.218:                              ;   in Loop: Header=BB18_212 Depth=2
	v_cmp_lt_u64_e32 vcc, s[50:51], v[11:12]
	v_add_u32_e32 v10, 7, v28
	v_cndmask_b32_e32 v26, v27, v10, vcc
	v_cndmask_b32_e64 v10, 0, 1, vcc
	v_lshrrev_b64 v[24:25], v10, v[11:12]
; %bb.219:                              ;   in Loop: Header=BB18_212 Depth=2
	s_andn2_saveexec_b64 s[2:3], s[2:3]
; %bb.220:                              ;   in Loop: Header=BB18_212 Depth=2
	v_mov_b32_e32 v25, v12
	v_bfe_u32 v26, v11, 23, 1
	v_mov_b32_e32 v24, v11
; %bb.221:                              ;   in Loop: Header=BB18_212 Depth=2
	s_or_b64 exec, exec, s[2:3]
	v_lshrrev_b64 v[10:11], 20, v[24:25]
	v_cmp_gt_i32_e32 vcc, 16, v26
	v_cndmask_b32_e32 v25, 0, v11, vcc
	v_cndmask_b32_e32 v24, 7, v10, vcc
	v_cmp_ne_u64_e32 vcc, 0, v[24:25]
	v_cmp_ne_u32_e64 s[2:3], 0, v26
	s_or_b64 s[2:3], s[2:3], vcc
	v_mov_b32_e32 v10, v17
	v_mov_b32_e32 v11, v18
	s_and_saveexec_b64 s[16:17], s[2:3]
	s_xor_b64 s[2:3], exec, s[16:17]
; %bb.222:                              ;   in Loop: Header=BB18_212 Depth=2
	v_min_i32_e32 v10, 15, v26
	v_lshl_or_b32 v10, v10, 3, v17
	v_and_or_b32 v10, v24, 7, v10
; %bb.223:                              ;   in Loop: Header=BB18_212 Depth=2
	s_andn2_saveexec_b64 s[2:3], s[2:3]
	s_or_b64 exec, exec, s[2:3]
.LBB18_224:                             ;   in Loop: Header=BB18_212 Depth=2
	s_or_b64 exec, exec, s[14:15]
                                        ; implicit-def: $vgpr17
.LBB18_225:                             ;   in Loop: Header=BB18_212 Depth=2
	s_andn2_saveexec_b64 s[2:3], s[12:13]
; %bb.226:                              ;   in Loop: Header=BB18_212 Depth=2
	v_or_b32_e32 v10, 0x7e, v17
; %bb.227:                              ;   in Loop: Header=BB18_212 Depth=2
	s_or_b64 exec, exec, s[2:3]
                                        ; implicit-def: $vgpr24
.LBB18_228:                             ;   in Loop: Header=BB18_212 Depth=2
	s_andn2_saveexec_b64 s[2:3], s[10:11]
; %bb.229:                              ;   in Loop: Header=BB18_212 Depth=2
	v_or_b32_sdwa v10, v24, s91 dst_sel:DWORD dst_unused:UNUSED_PAD src0_sel:BYTE_3 src1_sel:DWORD
; %bb.230:                              ;   in Loop: Header=BB18_212 Depth=2
	s_or_b64 exec, exec, s[2:3]
	v_cvt_f32_f16_sdwa v1, v1 dst_sel:DWORD dst_unused:UNUSED_PAD src0_sel:WORD_1
	v_div_scale_f32 v11, s[2:3], s71, s71, v1
	v_div_scale_f32 v17, vcc, v1, s71, v1
	v_rcp_f32_e32 v24, v11
	v_fma_f32 v25, -v11, v24, 1.0
	v_fmac_f32_e32 v24, v25, v24
	v_mul_f32_e32 v25, v17, v24
	v_fma_f32 v26, -v11, v25, v17
	v_fmac_f32_e32 v25, v26, v24
	v_fma_f32 v11, -v11, v25, v17
	v_div_fmas_f32 v11, v11, v24, v25
                                        ; implicit-def: $vgpr24_vgpr25
	v_div_fixup_f32 v1, v11, s71, v1
	v_cvt_f16_f32_e32 v1, v1
	v_cvt_f32_f16_e32 v17, v1
	v_and_b32_e32 v11, 0x7f800000, v17
	v_cmp_ne_u64_e32 vcc, s[46:47], v[11:12]
	s_and_saveexec_b64 s[2:3], vcc
	s_xor_b64 s[10:11], exec, s[2:3]
	s_cbranch_execz .LBB18_246
; %bb.231:                              ;   in Loop: Header=BB18_212 Depth=2
	v_and_b32_e32 v11, 0x7fffffff, v17
	v_cmp_gt_u64_e32 vcc, s[48:49], v[11:12]
	v_and_b32_sdwa v1, v17, s87 dst_sel:DWORD dst_unused:UNUSED_PAD src0_sel:BYTE_3 src1_sel:DWORD
                                        ; implicit-def: $vgpr24_vgpr25
	s_and_saveexec_b64 s[2:3], vcc
	s_xor_b64 s[12:13], exec, s[2:3]
	s_cbranch_execz .LBB18_243
; %bb.232:                              ;   in Loop: Header=BB18_212 Depth=2
	v_mov_b32_e32 v24, 0
	v_cmp_ne_u32_e32 vcc, 0, v17
	v_mov_b32_e32 v25, 0
	s_and_saveexec_b64 s[14:15], vcc
	s_cbranch_execz .LBB18_242
; %bb.233:                              ;   in Loop: Header=BB18_212 Depth=2
	v_and_b32_e32 v11, 0x7fffff, v17
	v_bfe_u32 v17, v17, 23, 8
	v_sub_u32_e32 v24, 0x79, v17
	v_cmp_gt_u32_e32 vcc, s88, v17
	v_cndmask_b32_e32 v24, 0, v24, vcc
	v_cmp_eq_u32_e32 vcc, 0, v17
	v_cndmask_b32_e32 v27, v24, v49, vcc
	v_add_u32_e32 v24, 20, v27
	v_or_b32_e32 v26, 0x800000, v11
	v_lshlrev_b64 v[24:25], v24, -1
	v_cndmask_b32_e32 v11, v26, v11, vcc
	v_bfi_b32 v28, v24, 0, v11
	v_add_u32_e32 v24, 19, v27
	v_bfi_b32 v29, v25, 0, 0
	v_lshlrev_b64 v[30:31], v24, 1
	v_lshrrev_b64 v[24:25], v27, v[11:12]
	v_cmp_eq_u64_e64 s[2:3], v[28:29], v[30:31]
	v_mov_b32_e32 v26, v25
	v_mov_b32_e32 v25, v24
	s_and_saveexec_b64 s[16:17], s[2:3]
; %bb.234:                              ;   in Loop: Header=BB18_212 Depth=2
	v_bfe_u32 v11, v24, 20, 1
	v_add_co_u32_e64 v11, s[2:3], v24, v11
	v_add_co_u32_e64 v25, s[2:3], -1, v11
; %bb.235:                              ;   in Loop: Header=BB18_212 Depth=2
	s_or_b64 exec, exec, s[16:17]
	v_add_u32_e32 v11, 0xffffff81, v17
	v_cndmask_b32_e32 v11, v11, v50, vcc
	v_lshrrev_b32_e32 v17, 23, v24
	v_add3_u32 v27, v27, v11, v17
	v_add_u32_e32 v26, 6, v27
	v_and_b32_e32 v11, 0xfffff, v25
	v_add_u32_e32 v11, v11, v24
	v_cmp_ne_u32_e32 vcc, 0, v26
                                        ; implicit-def: $vgpr24_vgpr25
                                        ; implicit-def: $vgpr17
	s_and_saveexec_b64 s[2:3], vcc
	s_xor_b64 s[2:3], exec, s[2:3]
; %bb.236:                              ;   in Loop: Header=BB18_212 Depth=2
	v_cmp_lt_u64_e32 vcc, s[50:51], v[11:12]
	v_add_u32_e32 v17, 7, v27
	v_cndmask_b32_e64 v24, 0, 1, vcc
	v_lshrrev_b64 v[24:25], v24, v[11:12]
	v_cndmask_b32_e32 v17, v26, v17, vcc
; %bb.237:                              ;   in Loop: Header=BB18_212 Depth=2
	s_andn2_saveexec_b64 s[2:3], s[2:3]
; %bb.238:                              ;   in Loop: Header=BB18_212 Depth=2
	v_mov_b32_e32 v25, v12
	v_bfe_u32 v17, v11, 23, 1
	v_mov_b32_e32 v24, v11
; %bb.239:                              ;   in Loop: Header=BB18_212 Depth=2
	s_or_b64 exec, exec, s[2:3]
	v_lshrrev_b64 v[24:25], 20, v[24:25]
	v_cmp_gt_i32_e32 vcc, 16, v17
	v_cndmask_b32_e32 v27, 0, v25, vcc
	v_cndmask_b32_e32 v26, 7, v24, vcc
	v_cmp_ne_u64_e32 vcc, 0, v[26:27]
	v_cmp_ne_u32_e64 s[2:3], 0, v17
	v_mov_b32_e32 v25, v2
	s_or_b64 s[2:3], s[2:3], vcc
	v_mov_b32_e32 v24, v1
	s_and_saveexec_b64 s[16:17], s[2:3]
	s_xor_b64 s[2:3], exec, s[16:17]
; %bb.240:                              ;   in Loop: Header=BB18_212 Depth=2
	v_min_i32_e32 v11, 15, v17
	v_lshl_or_b32 v1, v11, 3, v1
	v_and_or_b32 v24, v26, 7, v1
; %bb.241:                              ;   in Loop: Header=BB18_212 Depth=2
	s_andn2_saveexec_b64 s[2:3], s[2:3]
	s_or_b64 exec, exec, s[2:3]
.LBB18_242:                             ;   in Loop: Header=BB18_212 Depth=2
	s_or_b64 exec, exec, s[14:15]
                                        ; implicit-def: $vgpr1
.LBB18_243:                             ;   in Loop: Header=BB18_212 Depth=2
	s_andn2_saveexec_b64 s[2:3], s[12:13]
; %bb.244:                              ;   in Loop: Header=BB18_212 Depth=2
	v_or_b32_e32 v24, 0x7e, v1
; %bb.245:                              ;   in Loop: Header=BB18_212 Depth=2
	s_or_b64 exec, exec, s[2:3]
                                        ; implicit-def: $vgpr17
.LBB18_246:                             ;   in Loop: Header=BB18_212 Depth=2
	s_andn2_saveexec_b64 s[2:3], s[10:11]
; %bb.247:                              ;   in Loop: Header=BB18_212 Depth=2
	v_or_b32_sdwa v24, v17, s91 dst_sel:DWORD dst_unused:UNUSED_PAD src0_sel:BYTE_3 src1_sel:DWORD
; %bb.248:                              ;   in Loop: Header=BB18_212 Depth=2
	s_or_b64 exec, exec, s[2:3]
	v_cvt_f32_f16_e32 v1, v2
	v_div_scale_f32 v11, s[2:3], s71, s71, v1
	v_div_scale_f32 v17, vcc, v1, s71, v1
	v_rcp_f32_e32 v25, v11
	v_fma_f32 v26, -v11, v25, 1.0
	v_fmac_f32_e32 v25, v26, v25
	v_mul_f32_e32 v26, v17, v25
	v_fma_f32 v27, -v11, v26, v17
	v_fmac_f32_e32 v26, v27, v25
	v_fma_f32 v11, -v11, v26, v17
	v_div_fmas_f32 v11, v11, v25, v26
                                        ; implicit-def: $vgpr25_vgpr26
	v_div_fixup_f32 v1, v11, s71, v1
	v_cvt_f16_f32_e32 v1, v1
	v_cvt_f32_f16_e32 v17, v1
	v_and_b32_e32 v11, 0x7f800000, v17
	v_cmp_ne_u64_e32 vcc, s[46:47], v[11:12]
	s_and_saveexec_b64 s[2:3], vcc
	s_xor_b64 s[10:11], exec, s[2:3]
	s_cbranch_execz .LBB18_264
; %bb.249:                              ;   in Loop: Header=BB18_212 Depth=2
	v_and_b32_e32 v11, 0x7fffffff, v17
	v_cmp_gt_u64_e32 vcc, s[48:49], v[11:12]
	v_and_b32_sdwa v1, v17, s87 dst_sel:DWORD dst_unused:UNUSED_PAD src0_sel:BYTE_3 src1_sel:DWORD
                                        ; implicit-def: $vgpr25_vgpr26
	s_and_saveexec_b64 s[2:3], vcc
	s_xor_b64 s[12:13], exec, s[2:3]
	s_cbranch_execz .LBB18_261
; %bb.250:                              ;   in Loop: Header=BB18_212 Depth=2
	v_mov_b32_e32 v25, 0
	v_cmp_ne_u32_e32 vcc, 0, v17
	v_mov_b32_e32 v26, 0
	s_and_saveexec_b64 s[14:15], vcc
	s_cbranch_execz .LBB18_260
; %bb.251:                              ;   in Loop: Header=BB18_212 Depth=2
	v_and_b32_e32 v11, 0x7fffff, v17
	v_bfe_u32 v17, v17, 23, 8
	v_sub_u32_e32 v25, 0x79, v17
	v_cmp_gt_u32_e32 vcc, s88, v17
	v_cndmask_b32_e32 v25, 0, v25, vcc
	v_cmp_eq_u32_e32 vcc, 0, v17
	v_cndmask_b32_e32 v28, v25, v49, vcc
	v_add_u32_e32 v25, 20, v28
	v_or_b32_e32 v27, 0x800000, v11
	v_lshlrev_b64 v[25:26], v25, -1
	v_cndmask_b32_e32 v11, v27, v11, vcc
	v_bfi_b32 v29, v25, 0, v11
	v_add_u32_e32 v25, 19, v28
	v_bfi_b32 v30, v26, 0, 0
	v_lshlrev_b64 v[33:34], v25, 1
	v_lshrrev_b64 v[25:26], v28, v[11:12]
	v_cmp_eq_u64_e64 s[2:3], v[29:30], v[33:34]
	v_mov_b32_e32 v27, v26
	v_mov_b32_e32 v26, v25
	s_and_saveexec_b64 s[16:17], s[2:3]
; %bb.252:                              ;   in Loop: Header=BB18_212 Depth=2
	v_bfe_u32 v11, v25, 20, 1
	v_add_co_u32_e64 v11, s[2:3], v25, v11
	v_add_co_u32_e64 v26, s[2:3], -1, v11
; %bb.253:                              ;   in Loop: Header=BB18_212 Depth=2
	s_or_b64 exec, exec, s[16:17]
	v_add_u32_e32 v11, 0xffffff81, v17
	v_cndmask_b32_e32 v11, v11, v50, vcc
	v_lshrrev_b32_e32 v17, 23, v25
	v_add3_u32 v28, v28, v11, v17
	v_add_u32_e32 v27, 6, v28
	v_and_b32_e32 v11, 0xfffff, v26
	v_add_u32_e32 v11, v11, v25
	v_cmp_ne_u32_e32 vcc, 0, v27
                                        ; implicit-def: $vgpr25_vgpr26
                                        ; implicit-def: $vgpr17
	s_and_saveexec_b64 s[2:3], vcc
	s_xor_b64 s[2:3], exec, s[2:3]
; %bb.254:                              ;   in Loop: Header=BB18_212 Depth=2
	v_cmp_lt_u64_e32 vcc, s[50:51], v[11:12]
	v_add_u32_e32 v17, 7, v28
	v_cndmask_b32_e64 v25, 0, 1, vcc
	v_lshrrev_b64 v[25:26], v25, v[11:12]
	v_cndmask_b32_e32 v17, v27, v17, vcc
; %bb.255:                              ;   in Loop: Header=BB18_212 Depth=2
	s_andn2_saveexec_b64 s[2:3], s[2:3]
; %bb.256:                              ;   in Loop: Header=BB18_212 Depth=2
	v_mov_b32_e32 v26, v12
	v_bfe_u32 v17, v11, 23, 1
	v_mov_b32_e32 v25, v11
; %bb.257:                              ;   in Loop: Header=BB18_212 Depth=2
	s_or_b64 exec, exec, s[2:3]
	v_lshrrev_b64 v[25:26], 20, v[25:26]
	v_cmp_gt_i32_e32 vcc, 16, v17
	v_cndmask_b32_e32 v28, 0, v26, vcc
	v_cndmask_b32_e32 v27, 7, v25, vcc
	v_cmp_ne_u64_e32 vcc, 0, v[27:28]
	v_cmp_ne_u32_e64 s[2:3], 0, v17
	v_mov_b32_e32 v26, v2
	s_or_b64 s[2:3], s[2:3], vcc
	v_mov_b32_e32 v25, v1
	s_and_saveexec_b64 s[16:17], s[2:3]
	s_xor_b64 s[2:3], exec, s[16:17]
; %bb.258:                              ;   in Loop: Header=BB18_212 Depth=2
	v_min_i32_e32 v11, 15, v17
	v_lshl_or_b32 v1, v11, 3, v1
	v_and_or_b32 v25, v27, 7, v1
; %bb.259:                              ;   in Loop: Header=BB18_212 Depth=2
	s_andn2_saveexec_b64 s[2:3], s[2:3]
	s_or_b64 exec, exec, s[2:3]
.LBB18_260:                             ;   in Loop: Header=BB18_212 Depth=2
	s_or_b64 exec, exec, s[14:15]
                                        ; implicit-def: $vgpr1
.LBB18_261:                             ;   in Loop: Header=BB18_212 Depth=2
	s_andn2_saveexec_b64 s[2:3], s[12:13]
; %bb.262:                              ;   in Loop: Header=BB18_212 Depth=2
	v_or_b32_e32 v25, 0x7e, v1
; %bb.263:                              ;   in Loop: Header=BB18_212 Depth=2
	s_or_b64 exec, exec, s[2:3]
                                        ; implicit-def: $vgpr17
.LBB18_264:                             ;   in Loop: Header=BB18_212 Depth=2
	s_andn2_saveexec_b64 s[2:3], s[10:11]
; %bb.265:                              ;   in Loop: Header=BB18_212 Depth=2
	v_or_b32_sdwa v25, v17, s91 dst_sel:DWORD dst_unused:UNUSED_PAD src0_sel:BYTE_3 src1_sel:DWORD
; %bb.266:                              ;   in Loop: Header=BB18_212 Depth=2
	s_or_b64 exec, exec, s[2:3]
	v_cvt_f32_f16_sdwa v1, v2 dst_sel:DWORD dst_unused:UNUSED_PAD src0_sel:WORD_1
	v_div_scale_f32 v2, s[2:3], s71, s71, v1
	v_div_scale_f32 v11, vcc, v1, s71, v1
	v_rcp_f32_e32 v17, v2
	v_fma_f32 v26, -v2, v17, 1.0
	v_fmac_f32_e32 v17, v26, v17
	v_mul_f32_e32 v26, v11, v17
	v_fma_f32 v27, -v2, v26, v11
	v_fmac_f32_e32 v26, v27, v17
	v_fma_f32 v2, -v2, v26, v11
	v_div_fmas_f32 v2, v2, v17, v26
	v_div_fixup_f32 v1, v2, s71, v1
	v_cvt_f16_f32_e32 v1, v1
	v_cvt_f32_f16_e32 v26, v1
                                        ; implicit-def: $vgpr1_vgpr2
	v_and_b32_e32 v11, 0x7f800000, v26
	v_cmp_ne_u64_e32 vcc, s[46:47], v[11:12]
	s_and_saveexec_b64 s[2:3], vcc
	s_xor_b64 s[10:11], exec, s[2:3]
	s_cbranch_execz .LBB18_282
; %bb.267:                              ;   in Loop: Header=BB18_212 Depth=2
	v_and_b32_e32 v11, 0x7fffffff, v26
	v_cmp_gt_u64_e32 vcc, s[48:49], v[11:12]
	v_and_b32_sdwa v17, v26, s87 dst_sel:DWORD dst_unused:UNUSED_PAD src0_sel:BYTE_3 src1_sel:DWORD
                                        ; implicit-def: $vgpr1_vgpr2
	s_and_saveexec_b64 s[2:3], vcc
	s_xor_b64 s[12:13], exec, s[2:3]
	s_cbranch_execz .LBB18_279
; %bb.268:                              ;   in Loop: Header=BB18_212 Depth=2
	v_mov_b32_e32 v1, 0
	v_cmp_ne_u32_e32 vcc, 0, v26
	v_mov_b32_e32 v2, 0
	s_and_saveexec_b64 s[14:15], vcc
	s_cbranch_execz .LBB18_278
; %bb.269:                              ;   in Loop: Header=BB18_212 Depth=2
	v_bfe_u32 v28, v26, 23, 8
	v_sub_u32_e32 v1, 0x79, v28
	v_cmp_gt_u32_e32 vcc, s88, v28
	v_cndmask_b32_e32 v1, 0, v1, vcc
	v_cmp_eq_u32_e32 vcc, 0, v28
	v_cndmask_b32_e32 v29, v1, v49, vcc
	v_and_b32_e32 v11, 0x7fffff, v26
	v_add_u32_e32 v1, 20, v29
	v_or_b32_e32 v26, 0x800000, v11
	v_lshlrev_b64 v[1:2], v1, -1
	v_cndmask_b32_e32 v11, v26, v11, vcc
	v_bfi_b32 v26, v1, 0, v11
	v_add_u32_e32 v1, 19, v29
	v_bfi_b32 v27, v2, 0, 0
	v_lshlrev_b64 v[30:31], v1, 1
	v_lshrrev_b64 v[1:2], v29, v[11:12]
	v_cmp_eq_u64_e64 s[2:3], v[26:27], v[30:31]
	v_mov_b32_e32 v27, v2
	v_mov_b32_e32 v26, v1
	s_and_saveexec_b64 s[16:17], s[2:3]
; %bb.270:                              ;   in Loop: Header=BB18_212 Depth=2
	v_bfe_u32 v2, v1, 20, 1
	v_add_co_u32_e64 v2, s[2:3], v1, v2
	v_add_co_u32_e64 v26, s[2:3], -1, v2
; %bb.271:                              ;   in Loop: Header=BB18_212 Depth=2
	s_or_b64 exec, exec, s[16:17]
	v_add_u32_e32 v2, 0xffffff81, v28
	v_cndmask_b32_e32 v2, v2, v50, vcc
	v_lshrrev_b32_e32 v11, 23, v1
	v_add3_u32 v29, v29, v2, v11
	v_add_u32_e32 v27, 6, v29
	v_and_b32_e32 v2, 0xfffff, v26
	v_add_u32_e32 v11, v2, v1
	v_cmp_ne_u32_e32 vcc, 0, v27
                                        ; implicit-def: $vgpr1_vgpr2
                                        ; implicit-def: $vgpr28
	s_and_saveexec_b64 s[2:3], vcc
	s_xor_b64 s[2:3], exec, s[2:3]
; %bb.272:                              ;   in Loop: Header=BB18_212 Depth=2
	v_cmp_lt_u64_e32 vcc, s[50:51], v[11:12]
	v_add_u32_e32 v1, 7, v29
	v_cndmask_b32_e32 v28, v27, v1, vcc
	v_cndmask_b32_e64 v1, 0, 1, vcc
	v_lshrrev_b64 v[1:2], v1, v[11:12]
; %bb.273:                              ;   in Loop: Header=BB18_212 Depth=2
	s_andn2_saveexec_b64 s[2:3], s[2:3]
; %bb.274:                              ;   in Loop: Header=BB18_212 Depth=2
	v_mov_b32_e32 v1, v11
	v_bfe_u32 v28, v11, 23, 1
	v_mov_b32_e32 v2, v12
; %bb.275:                              ;   in Loop: Header=BB18_212 Depth=2
	s_or_b64 exec, exec, s[2:3]
	v_lshrrev_b64 v[1:2], 20, v[1:2]
	v_cmp_gt_i32_e32 vcc, 16, v28
	v_cndmask_b32_e32 v27, 0, v2, vcc
	v_cndmask_b32_e32 v26, 7, v1, vcc
	v_cmp_ne_u64_e32 vcc, 0, v[26:27]
	v_cmp_ne_u32_e64 s[2:3], 0, v28
	s_or_b64 s[2:3], s[2:3], vcc
	v_mov_b32_e32 v1, v17
	v_mov_b32_e32 v2, v18
	s_and_saveexec_b64 s[16:17], s[2:3]
	s_xor_b64 s[2:3], exec, s[16:17]
; %bb.276:                              ;   in Loop: Header=BB18_212 Depth=2
	v_min_i32_e32 v1, 15, v28
	v_lshl_or_b32 v1, v1, 3, v17
	v_and_or_b32 v1, v26, 7, v1
; %bb.277:                              ;   in Loop: Header=BB18_212 Depth=2
	s_andn2_saveexec_b64 s[2:3], s[2:3]
	s_or_b64 exec, exec, s[2:3]
.LBB18_278:                             ;   in Loop: Header=BB18_212 Depth=2
	s_or_b64 exec, exec, s[14:15]
                                        ; implicit-def: $vgpr17
.LBB18_279:                             ;   in Loop: Header=BB18_212 Depth=2
	s_andn2_saveexec_b64 s[2:3], s[12:13]
; %bb.280:                              ;   in Loop: Header=BB18_212 Depth=2
	v_or_b32_e32 v1, 0x7e, v17
; %bb.281:                              ;   in Loop: Header=BB18_212 Depth=2
	s_or_b64 exec, exec, s[2:3]
                                        ; implicit-def: $vgpr26
.LBB18_282:                             ;   in Loop: Header=BB18_212 Depth=2
	s_andn2_saveexec_b64 s[2:3], s[10:11]
; %bb.283:                              ;   in Loop: Header=BB18_212 Depth=2
	v_or_b32_sdwa v1, v26, s91 dst_sel:DWORD dst_unused:UNUSED_PAD src0_sel:BYTE_3 src1_sel:DWORD
; %bb.284:                              ;   in Loop: Header=BB18_212 Depth=2
	s_or_b64 exec, exec, s[2:3]
	v_cvt_f32_f16_e32 v2, v3
	v_div_scale_f32 v11, s[2:3], s71, s71, v2
	v_div_scale_f32 v17, vcc, v2, s71, v2
	v_rcp_f32_e32 v26, v11
	v_fma_f32 v27, -v11, v26, 1.0
	v_fmac_f32_e32 v26, v27, v26
	v_mul_f32_e32 v27, v17, v26
	v_fma_f32 v28, -v11, v27, v17
	v_fmac_f32_e32 v27, v28, v26
	v_fma_f32 v11, -v11, v27, v17
	v_div_fmas_f32 v11, v11, v26, v27
                                        ; implicit-def: $vgpr26_vgpr27
	v_div_fixup_f32 v2, v11, s71, v2
	v_cvt_f16_f32_e32 v2, v2
	v_cvt_f32_f16_e32 v17, v2
	v_and_b32_e32 v11, 0x7f800000, v17
	v_cmp_ne_u64_e32 vcc, s[46:47], v[11:12]
	s_and_saveexec_b64 s[2:3], vcc
	s_xor_b64 s[10:11], exec, s[2:3]
	s_cbranch_execz .LBB18_300
; %bb.285:                              ;   in Loop: Header=BB18_212 Depth=2
	v_and_b32_e32 v11, 0x7fffffff, v17
	v_cmp_gt_u64_e32 vcc, s[48:49], v[11:12]
	v_and_b32_sdwa v2, v17, s87 dst_sel:DWORD dst_unused:UNUSED_PAD src0_sel:BYTE_3 src1_sel:DWORD
                                        ; implicit-def: $vgpr26_vgpr27
	s_and_saveexec_b64 s[2:3], vcc
	s_xor_b64 s[12:13], exec, s[2:3]
	s_cbranch_execz .LBB18_297
; %bb.286:                              ;   in Loop: Header=BB18_212 Depth=2
	v_mov_b32_e32 v26, 0
	v_cmp_ne_u32_e32 vcc, 0, v17
	v_mov_b32_e32 v27, 0
	s_and_saveexec_b64 s[14:15], vcc
	s_cbranch_execz .LBB18_296
; %bb.287:                              ;   in Loop: Header=BB18_212 Depth=2
	v_and_b32_e32 v11, 0x7fffff, v17
	v_bfe_u32 v17, v17, 23, 8
	v_sub_u32_e32 v26, 0x79, v17
	v_cmp_gt_u32_e32 vcc, s88, v17
	v_cndmask_b32_e32 v26, 0, v26, vcc
	v_cmp_eq_u32_e32 vcc, 0, v17
	v_cndmask_b32_e32 v29, v26, v49, vcc
	v_add_u32_e32 v26, 20, v29
	v_or_b32_e32 v28, 0x800000, v11
	v_lshlrev_b64 v[26:27], v26, -1
	v_cndmask_b32_e32 v11, v28, v11, vcc
	v_bfi_b32 v30, v26, 0, v11
	v_add_u32_e32 v26, 19, v29
	v_bfi_b32 v31, v27, 0, 0
	v_lshlrev_b64 v[33:34], v26, 1
	v_lshrrev_b64 v[26:27], v29, v[11:12]
	v_cmp_eq_u64_e64 s[2:3], v[30:31], v[33:34]
	v_mov_b32_e32 v28, v27
	v_mov_b32_e32 v27, v26
	s_and_saveexec_b64 s[16:17], s[2:3]
; %bb.288:                              ;   in Loop: Header=BB18_212 Depth=2
	v_bfe_u32 v11, v26, 20, 1
	v_add_co_u32_e64 v11, s[2:3], v26, v11
	v_add_co_u32_e64 v27, s[2:3], -1, v11
; %bb.289:                              ;   in Loop: Header=BB18_212 Depth=2
	s_or_b64 exec, exec, s[16:17]
	v_add_u32_e32 v11, 0xffffff81, v17
	v_cndmask_b32_e32 v11, v11, v50, vcc
	v_lshrrev_b32_e32 v17, 23, v26
	v_add3_u32 v29, v29, v11, v17
	v_add_u32_e32 v28, 6, v29
	v_and_b32_e32 v11, 0xfffff, v27
	v_add_u32_e32 v11, v11, v26
	v_cmp_ne_u32_e32 vcc, 0, v28
                                        ; implicit-def: $vgpr26_vgpr27
                                        ; implicit-def: $vgpr17
	s_and_saveexec_b64 s[2:3], vcc
	s_xor_b64 s[2:3], exec, s[2:3]
; %bb.290:                              ;   in Loop: Header=BB18_212 Depth=2
	v_cmp_lt_u64_e32 vcc, s[50:51], v[11:12]
	v_add_u32_e32 v17, 7, v29
	v_cndmask_b32_e64 v26, 0, 1, vcc
	v_lshrrev_b64 v[26:27], v26, v[11:12]
	v_cndmask_b32_e32 v17, v28, v17, vcc
; %bb.291:                              ;   in Loop: Header=BB18_212 Depth=2
	s_andn2_saveexec_b64 s[2:3], s[2:3]
; %bb.292:                              ;   in Loop: Header=BB18_212 Depth=2
	v_mov_b32_e32 v27, v12
	v_bfe_u32 v17, v11, 23, 1
	v_mov_b32_e32 v26, v11
; %bb.293:                              ;   in Loop: Header=BB18_212 Depth=2
	s_or_b64 exec, exec, s[2:3]
	v_lshrrev_b64 v[26:27], 20, v[26:27]
	v_cmp_gt_i32_e32 vcc, 16, v17
	v_cndmask_b32_e32 v29, 0, v27, vcc
	v_cndmask_b32_e32 v28, 7, v26, vcc
	v_cmp_ne_u64_e32 vcc, 0, v[28:29]
	v_cmp_ne_u32_e64 s[2:3], 0, v17
	v_mov_b32_e32 v27, v3
	s_or_b64 s[2:3], s[2:3], vcc
	v_mov_b32_e32 v26, v2
	s_and_saveexec_b64 s[16:17], s[2:3]
	s_xor_b64 s[2:3], exec, s[16:17]
; %bb.294:                              ;   in Loop: Header=BB18_212 Depth=2
	v_min_i32_e32 v11, 15, v17
	v_lshl_or_b32 v2, v11, 3, v2
	v_and_or_b32 v26, v28, 7, v2
; %bb.295:                              ;   in Loop: Header=BB18_212 Depth=2
	s_andn2_saveexec_b64 s[2:3], s[2:3]
	s_or_b64 exec, exec, s[2:3]
.LBB18_296:                             ;   in Loop: Header=BB18_212 Depth=2
	s_or_b64 exec, exec, s[14:15]
                                        ; implicit-def: $vgpr2
.LBB18_297:                             ;   in Loop: Header=BB18_212 Depth=2
	s_andn2_saveexec_b64 s[2:3], s[12:13]
; %bb.298:                              ;   in Loop: Header=BB18_212 Depth=2
	v_or_b32_e32 v26, 0x7e, v2
; %bb.299:                              ;   in Loop: Header=BB18_212 Depth=2
	s_or_b64 exec, exec, s[2:3]
                                        ; implicit-def: $vgpr17
.LBB18_300:                             ;   in Loop: Header=BB18_212 Depth=2
	s_andn2_saveexec_b64 s[2:3], s[10:11]
; %bb.301:                              ;   in Loop: Header=BB18_212 Depth=2
	v_or_b32_sdwa v26, v17, s91 dst_sel:DWORD dst_unused:UNUSED_PAD src0_sel:BYTE_3 src1_sel:DWORD
; %bb.302:                              ;   in Loop: Header=BB18_212 Depth=2
	s_or_b64 exec, exec, s[2:3]
	v_cvt_f32_f16_sdwa v2, v3 dst_sel:DWORD dst_unused:UNUSED_PAD src0_sel:WORD_1
	v_div_scale_f32 v3, s[2:3], s71, s71, v2
	v_div_scale_f32 v11, vcc, v2, s71, v2
	v_rcp_f32_e32 v17, v3
	v_fma_f32 v27, -v3, v17, 1.0
	v_fmac_f32_e32 v17, v27, v17
	v_mul_f32_e32 v27, v11, v17
	v_fma_f32 v28, -v3, v27, v11
	v_fmac_f32_e32 v27, v28, v17
	v_fma_f32 v3, -v3, v27, v11
	v_div_fmas_f32 v3, v3, v17, v27
	v_div_fixup_f32 v2, v3, s71, v2
	v_cvt_f16_f32_e32 v2, v2
	v_cvt_f32_f16_e32 v27, v2
                                        ; implicit-def: $vgpr2_vgpr3
	v_and_b32_e32 v11, 0x7f800000, v27
	v_cmp_ne_u64_e32 vcc, s[46:47], v[11:12]
	s_and_saveexec_b64 s[2:3], vcc
	s_xor_b64 s[10:11], exec, s[2:3]
	s_cbranch_execz .LBB18_318
; %bb.303:                              ;   in Loop: Header=BB18_212 Depth=2
	v_and_b32_e32 v11, 0x7fffffff, v27
	v_cmp_gt_u64_e32 vcc, s[48:49], v[11:12]
	v_and_b32_sdwa v17, v27, s87 dst_sel:DWORD dst_unused:UNUSED_PAD src0_sel:BYTE_3 src1_sel:DWORD
                                        ; implicit-def: $vgpr2_vgpr3
	s_and_saveexec_b64 s[2:3], vcc
	s_xor_b64 s[12:13], exec, s[2:3]
	s_cbranch_execz .LBB18_315
; %bb.304:                              ;   in Loop: Header=BB18_212 Depth=2
	v_mov_b32_e32 v2, 0
	v_cmp_ne_u32_e32 vcc, 0, v27
	v_mov_b32_e32 v3, 0
	s_and_saveexec_b64 s[14:15], vcc
	s_cbranch_execz .LBB18_314
; %bb.305:                              ;   in Loop: Header=BB18_212 Depth=2
	v_bfe_u32 v29, v27, 23, 8
	v_sub_u32_e32 v2, 0x79, v29
	v_cmp_gt_u32_e32 vcc, s88, v29
	v_cndmask_b32_e32 v2, 0, v2, vcc
	v_cmp_eq_u32_e32 vcc, 0, v29
	v_cndmask_b32_e32 v30, v2, v49, vcc
	v_and_b32_e32 v11, 0x7fffff, v27
	v_add_u32_e32 v2, 20, v30
	v_or_b32_e32 v27, 0x800000, v11
	v_lshlrev_b64 v[2:3], v2, -1
	v_cndmask_b32_e32 v11, v27, v11, vcc
	v_bfi_b32 v27, v2, 0, v11
	v_add_u32_e32 v2, 19, v30
	v_bfi_b32 v28, v3, 0, 0
	v_lshlrev_b64 v[33:34], v2, 1
	v_lshrrev_b64 v[2:3], v30, v[11:12]
	v_cmp_eq_u64_e64 s[2:3], v[27:28], v[33:34]
	v_mov_b32_e32 v28, v3
	v_mov_b32_e32 v27, v2
	s_and_saveexec_b64 s[16:17], s[2:3]
; %bb.306:                              ;   in Loop: Header=BB18_212 Depth=2
	v_bfe_u32 v3, v2, 20, 1
	v_add_co_u32_e64 v3, s[2:3], v2, v3
	v_add_co_u32_e64 v27, s[2:3], -1, v3
; %bb.307:                              ;   in Loop: Header=BB18_212 Depth=2
	s_or_b64 exec, exec, s[16:17]
	v_add_u32_e32 v3, 0xffffff81, v29
	v_cndmask_b32_e32 v3, v3, v50, vcc
	v_lshrrev_b32_e32 v11, 23, v2
	v_add3_u32 v30, v30, v3, v11
	v_add_u32_e32 v28, 6, v30
	v_and_b32_e32 v3, 0xfffff, v27
	v_add_u32_e32 v11, v3, v2
	v_cmp_ne_u32_e32 vcc, 0, v28
                                        ; implicit-def: $vgpr2_vgpr3
                                        ; implicit-def: $vgpr29
	s_and_saveexec_b64 s[2:3], vcc
	s_xor_b64 s[2:3], exec, s[2:3]
; %bb.308:                              ;   in Loop: Header=BB18_212 Depth=2
	v_cmp_lt_u64_e32 vcc, s[50:51], v[11:12]
	v_add_u32_e32 v2, 7, v30
	v_cndmask_b32_e32 v29, v28, v2, vcc
	v_cndmask_b32_e64 v2, 0, 1, vcc
	v_lshrrev_b64 v[2:3], v2, v[11:12]
; %bb.309:                              ;   in Loop: Header=BB18_212 Depth=2
	s_andn2_saveexec_b64 s[2:3], s[2:3]
; %bb.310:                              ;   in Loop: Header=BB18_212 Depth=2
	v_mov_b32_e32 v2, v11
	v_bfe_u32 v29, v11, 23, 1
	v_mov_b32_e32 v3, v12
; %bb.311:                              ;   in Loop: Header=BB18_212 Depth=2
	s_or_b64 exec, exec, s[2:3]
	v_lshrrev_b64 v[2:3], 20, v[2:3]
	v_cmp_gt_i32_e32 vcc, 16, v29
	v_cndmask_b32_e32 v28, 0, v3, vcc
	v_cndmask_b32_e32 v27, 7, v2, vcc
	v_cmp_ne_u64_e32 vcc, 0, v[27:28]
	v_cmp_ne_u32_e64 s[2:3], 0, v29
	s_or_b64 s[2:3], s[2:3], vcc
	v_mov_b32_e32 v2, v17
	v_mov_b32_e32 v3, v18
	s_and_saveexec_b64 s[16:17], s[2:3]
	s_xor_b64 s[2:3], exec, s[16:17]
; %bb.312:                              ;   in Loop: Header=BB18_212 Depth=2
	v_min_i32_e32 v2, 15, v29
	v_lshl_or_b32 v2, v2, 3, v17
	v_and_or_b32 v2, v27, 7, v2
; %bb.313:                              ;   in Loop: Header=BB18_212 Depth=2
	s_andn2_saveexec_b64 s[2:3], s[2:3]
	s_or_b64 exec, exec, s[2:3]
.LBB18_314:                             ;   in Loop: Header=BB18_212 Depth=2
	s_or_b64 exec, exec, s[14:15]
                                        ; implicit-def: $vgpr17
.LBB18_315:                             ;   in Loop: Header=BB18_212 Depth=2
	s_andn2_saveexec_b64 s[2:3], s[12:13]
; %bb.316:                              ;   in Loop: Header=BB18_212 Depth=2
	v_or_b32_e32 v2, 0x7e, v17
; %bb.317:                              ;   in Loop: Header=BB18_212 Depth=2
	s_or_b64 exec, exec, s[2:3]
                                        ; implicit-def: $vgpr27
.LBB18_318:                             ;   in Loop: Header=BB18_212 Depth=2
	s_andn2_saveexec_b64 s[2:3], s[10:11]
; %bb.319:                              ;   in Loop: Header=BB18_212 Depth=2
	v_or_b32_sdwa v2, v27, s91 dst_sel:DWORD dst_unused:UNUSED_PAD src0_sel:BYTE_3 src1_sel:DWORD
; %bb.320:                              ;   in Loop: Header=BB18_212 Depth=2
	s_or_b64 exec, exec, s[2:3]
	v_cvt_f32_f16_e32 v3, v4
	v_div_scale_f32 v11, s[2:3], s71, s71, v3
	v_div_scale_f32 v17, vcc, v3, s71, v3
	v_rcp_f32_e32 v27, v11
	v_fma_f32 v28, -v11, v27, 1.0
	v_fmac_f32_e32 v27, v28, v27
	v_mul_f32_e32 v28, v17, v27
	v_fma_f32 v29, -v11, v28, v17
	v_fmac_f32_e32 v28, v29, v27
	v_fma_f32 v11, -v11, v28, v17
	v_div_fmas_f32 v11, v11, v27, v28
                                        ; implicit-def: $vgpr27_vgpr28
	v_div_fixup_f32 v3, v11, s71, v3
	v_cvt_f16_f32_e32 v3, v3
	v_cvt_f32_f16_e32 v17, v3
	v_and_b32_e32 v11, 0x7f800000, v17
	v_cmp_ne_u64_e32 vcc, s[46:47], v[11:12]
	s_and_saveexec_b64 s[2:3], vcc
	s_xor_b64 s[10:11], exec, s[2:3]
	s_cbranch_execz .LBB18_336
; %bb.321:                              ;   in Loop: Header=BB18_212 Depth=2
	v_and_b32_e32 v11, 0x7fffffff, v17
	v_cmp_gt_u64_e32 vcc, s[48:49], v[11:12]
	v_and_b32_sdwa v3, v17, s87 dst_sel:DWORD dst_unused:UNUSED_PAD src0_sel:BYTE_3 src1_sel:DWORD
                                        ; implicit-def: $vgpr27_vgpr28
	s_and_saveexec_b64 s[2:3], vcc
	s_xor_b64 s[12:13], exec, s[2:3]
	s_cbranch_execz .LBB18_333
; %bb.322:                              ;   in Loop: Header=BB18_212 Depth=2
	v_mov_b32_e32 v27, 0
	v_cmp_ne_u32_e32 vcc, 0, v17
	v_mov_b32_e32 v28, 0
	s_and_saveexec_b64 s[14:15], vcc
	s_cbranch_execz .LBB18_332
; %bb.323:                              ;   in Loop: Header=BB18_212 Depth=2
	v_and_b32_e32 v11, 0x7fffff, v17
	v_bfe_u32 v17, v17, 23, 8
	v_sub_u32_e32 v27, 0x79, v17
	v_cmp_gt_u32_e32 vcc, s88, v17
	v_cndmask_b32_e32 v27, 0, v27, vcc
	v_cmp_eq_u32_e32 vcc, 0, v17
	v_cndmask_b32_e32 v30, v27, v49, vcc
	v_add_u32_e32 v27, 20, v30
	v_or_b32_e32 v29, 0x800000, v11
	v_lshlrev_b64 v[27:28], v27, -1
	v_cndmask_b32_e32 v11, v29, v11, vcc
	v_bfi_b32 v33, v27, 0, v11
	v_add_u32_e32 v27, 19, v30
	v_bfi_b32 v34, v28, 0, 0
	v_lshlrev_b64 v[51:52], v27, 1
	v_lshrrev_b64 v[27:28], v30, v[11:12]
	v_cmp_eq_u64_e64 s[2:3], v[33:34], v[51:52]
	v_mov_b32_e32 v29, v28
	v_mov_b32_e32 v28, v27
	s_and_saveexec_b64 s[16:17], s[2:3]
; %bb.324:                              ;   in Loop: Header=BB18_212 Depth=2
	v_bfe_u32 v11, v27, 20, 1
	v_add_co_u32_e64 v11, s[2:3], v27, v11
	v_add_co_u32_e64 v28, s[2:3], -1, v11
; %bb.325:                              ;   in Loop: Header=BB18_212 Depth=2
	s_or_b64 exec, exec, s[16:17]
	v_add_u32_e32 v11, 0xffffff81, v17
	v_cndmask_b32_e32 v11, v11, v50, vcc
	v_lshrrev_b32_e32 v17, 23, v27
	v_add3_u32 v30, v30, v11, v17
	v_add_u32_e32 v29, 6, v30
	v_and_b32_e32 v11, 0xfffff, v28
	v_add_u32_e32 v11, v11, v27
	v_cmp_ne_u32_e32 vcc, 0, v29
                                        ; implicit-def: $vgpr27_vgpr28
                                        ; implicit-def: $vgpr17
	s_and_saveexec_b64 s[2:3], vcc
	s_xor_b64 s[2:3], exec, s[2:3]
; %bb.326:                              ;   in Loop: Header=BB18_212 Depth=2
	v_cmp_lt_u64_e32 vcc, s[50:51], v[11:12]
	v_add_u32_e32 v17, 7, v30
	v_cndmask_b32_e64 v27, 0, 1, vcc
	v_lshrrev_b64 v[27:28], v27, v[11:12]
	v_cndmask_b32_e32 v17, v29, v17, vcc
; %bb.327:                              ;   in Loop: Header=BB18_212 Depth=2
	s_andn2_saveexec_b64 s[2:3], s[2:3]
; %bb.328:                              ;   in Loop: Header=BB18_212 Depth=2
	v_mov_b32_e32 v28, v12
	v_bfe_u32 v17, v11, 23, 1
	v_mov_b32_e32 v27, v11
; %bb.329:                              ;   in Loop: Header=BB18_212 Depth=2
	s_or_b64 exec, exec, s[2:3]
	v_lshrrev_b64 v[27:28], 20, v[27:28]
	v_cmp_gt_i32_e32 vcc, 16, v17
	v_cndmask_b32_e32 v30, 0, v28, vcc
	v_cndmask_b32_e32 v29, 7, v27, vcc
	v_cmp_ne_u64_e32 vcc, 0, v[29:30]
	v_cmp_ne_u32_e64 s[2:3], 0, v17
	v_mov_b32_e32 v28, v4
	s_or_b64 s[2:3], s[2:3], vcc
	v_mov_b32_e32 v27, v3
	s_and_saveexec_b64 s[16:17], s[2:3]
	s_xor_b64 s[2:3], exec, s[16:17]
; %bb.330:                              ;   in Loop: Header=BB18_212 Depth=2
	v_min_i32_e32 v11, 15, v17
	v_lshl_or_b32 v3, v11, 3, v3
	v_and_or_b32 v27, v29, 7, v3
; %bb.331:                              ;   in Loop: Header=BB18_212 Depth=2
	s_andn2_saveexec_b64 s[2:3], s[2:3]
	s_or_b64 exec, exec, s[2:3]
.LBB18_332:                             ;   in Loop: Header=BB18_212 Depth=2
	s_or_b64 exec, exec, s[14:15]
                                        ; implicit-def: $vgpr3
.LBB18_333:                             ;   in Loop: Header=BB18_212 Depth=2
	s_andn2_saveexec_b64 s[2:3], s[12:13]
; %bb.334:                              ;   in Loop: Header=BB18_212 Depth=2
	v_or_b32_e32 v27, 0x7e, v3
; %bb.335:                              ;   in Loop: Header=BB18_212 Depth=2
	s_or_b64 exec, exec, s[2:3]
                                        ; implicit-def: $vgpr17
.LBB18_336:                             ;   in Loop: Header=BB18_212 Depth=2
	s_andn2_saveexec_b64 s[2:3], s[10:11]
; %bb.337:                              ;   in Loop: Header=BB18_212 Depth=2
	v_or_b32_sdwa v27, v17, s91 dst_sel:DWORD dst_unused:UNUSED_PAD src0_sel:BYTE_3 src1_sel:DWORD
; %bb.338:                              ;   in Loop: Header=BB18_212 Depth=2
	s_or_b64 exec, exec, s[2:3]
	v_cvt_f32_f16_sdwa v3, v4 dst_sel:DWORD dst_unused:UNUSED_PAD src0_sel:WORD_1
	v_div_scale_f32 v4, s[2:3], s71, s71, v3
	v_div_scale_f32 v11, vcc, v3, s71, v3
	v_rcp_f32_e32 v17, v4
	v_fma_f32 v28, -v4, v17, 1.0
	v_fmac_f32_e32 v17, v28, v17
	v_mul_f32_e32 v28, v11, v17
	v_fma_f32 v29, -v4, v28, v11
	v_fmac_f32_e32 v28, v29, v17
	v_fma_f32 v4, -v4, v28, v11
	v_div_fmas_f32 v4, v4, v17, v28
                                        ; implicit-def: $vgpr28_vgpr29
	v_div_fixup_f32 v3, v4, s71, v3
	v_cvt_f16_f32_e32 v3, v3
	v_cvt_f32_f16_e32 v4, v3
	v_and_b32_e32 v11, 0x7f800000, v4
	v_cmp_ne_u64_e32 vcc, s[46:47], v[11:12]
	s_and_saveexec_b64 s[2:3], vcc
	s_xor_b64 s[10:11], exec, s[2:3]
	s_cbranch_execz .LBB18_354
; %bb.339:                              ;   in Loop: Header=BB18_212 Depth=2
	v_and_b32_e32 v11, 0x7fffffff, v4
	v_cmp_gt_u64_e32 vcc, s[48:49], v[11:12]
	v_and_b32_sdwa v3, v4, s87 dst_sel:DWORD dst_unused:UNUSED_PAD src0_sel:BYTE_3 src1_sel:DWORD
                                        ; implicit-def: $vgpr28_vgpr29
	s_and_saveexec_b64 s[2:3], vcc
	s_xor_b64 s[12:13], exec, s[2:3]
	s_cbranch_execz .LBB18_351
; %bb.340:                              ;   in Loop: Header=BB18_212 Depth=2
	v_mov_b32_e32 v28, 0
	v_cmp_ne_u32_e32 vcc, 0, v4
	v_mov_b32_e32 v29, 0
	s_and_saveexec_b64 s[14:15], vcc
	s_cbranch_execz .LBB18_350
; %bb.341:                              ;   in Loop: Header=BB18_212 Depth=2
	v_and_b32_e32 v11, 0x7fffff, v4
	v_bfe_u32 v4, v4, 23, 8
	v_sub_u32_e32 v17, 0x79, v4
	v_cmp_gt_u32_e32 vcc, s88, v4
	v_cndmask_b32_e32 v17, 0, v17, vcc
	v_cmp_eq_u32_e32 vcc, 0, v4
	v_cndmask_b32_e32 v17, v17, v49, vcc
	v_add_u32_e32 v28, 20, v17
	v_or_b32_e32 v30, 0x800000, v11
	v_lshlrev_b64 v[28:29], v28, -1
	v_cndmask_b32_e32 v11, v30, v11, vcc
	v_bfi_b32 v30, v28, 0, v11
	v_add_u32_e32 v28, 19, v17
	v_bfi_b32 v31, v29, 0, 0
	v_lshlrev_b64 v[33:34], v28, 1
	v_lshrrev_b64 v[28:29], v17, v[11:12]
	v_cmp_eq_u64_e64 s[2:3], v[30:31], v[33:34]
	v_mov_b32_e32 v30, v29
	v_mov_b32_e32 v29, v28
	s_and_saveexec_b64 s[16:17], s[2:3]
; %bb.342:                              ;   in Loop: Header=BB18_212 Depth=2
	v_bfe_u32 v11, v28, 20, 1
	v_add_co_u32_e64 v11, s[2:3], v28, v11
	v_add_co_u32_e64 v29, s[2:3], -1, v11
; %bb.343:                              ;   in Loop: Header=BB18_212 Depth=2
	s_or_b64 exec, exec, s[16:17]
	v_add_u32_e32 v4, 0xffffff81, v4
	v_cndmask_b32_e32 v4, v4, v50, vcc
	v_lshrrev_b32_e32 v11, 23, v28
	v_add3_u32 v30, v17, v4, v11
	v_add_u32_e32 v17, 6, v30
	v_and_b32_e32 v4, 0xfffff, v29
	v_add_u32_e32 v11, v4, v28
	v_cmp_ne_u32_e32 vcc, 0, v17
                                        ; implicit-def: $vgpr28_vgpr29
                                        ; implicit-def: $vgpr4
	s_and_saveexec_b64 s[2:3], vcc
	s_xor_b64 s[2:3], exec, s[2:3]
; %bb.344:                              ;   in Loop: Header=BB18_212 Depth=2
	v_cmp_lt_u64_e32 vcc, s[50:51], v[11:12]
	v_add_u32_e32 v4, 7, v30
	v_cndmask_b32_e32 v4, v17, v4, vcc
	v_cndmask_b32_e64 v17, 0, 1, vcc
	v_lshrrev_b64 v[28:29], v17, v[11:12]
; %bb.345:                              ;   in Loop: Header=BB18_212 Depth=2
	s_andn2_saveexec_b64 s[2:3], s[2:3]
; %bb.346:                              ;   in Loop: Header=BB18_212 Depth=2
	v_mov_b32_e32 v29, v12
	v_bfe_u32 v4, v11, 23, 1
	v_mov_b32_e32 v28, v11
; %bb.347:                              ;   in Loop: Header=BB18_212 Depth=2
	s_or_b64 exec, exec, s[2:3]
	v_lshrrev_b64 v[28:29], 20, v[28:29]
	v_cmp_gt_i32_e32 vcc, 16, v4
	v_cndmask_b32_e32 v31, 0, v29, vcc
	v_cndmask_b32_e32 v30, 7, v28, vcc
	v_cmp_ne_u64_e32 vcc, 0, v[30:31]
	v_cmp_ne_u32_e64 s[2:3], 0, v4
	v_mov_b32_e32 v29, v4
	s_or_b64 s[2:3], s[2:3], vcc
	v_mov_b32_e32 v28, v3
	s_and_saveexec_b64 s[16:17], s[2:3]
	s_xor_b64 s[2:3], exec, s[16:17]
; %bb.348:                              ;   in Loop: Header=BB18_212 Depth=2
	v_min_i32_e32 v4, 15, v4
	v_lshl_or_b32 v3, v4, 3, v3
	v_and_or_b32 v28, v30, 7, v3
; %bb.349:                              ;   in Loop: Header=BB18_212 Depth=2
	s_andn2_saveexec_b64 s[2:3], s[2:3]
	s_or_b64 exec, exec, s[2:3]
.LBB18_350:                             ;   in Loop: Header=BB18_212 Depth=2
	s_or_b64 exec, exec, s[14:15]
                                        ; implicit-def: $vgpr3
.LBB18_351:                             ;   in Loop: Header=BB18_212 Depth=2
	s_andn2_saveexec_b64 s[2:3], s[12:13]
; %bb.352:                              ;   in Loop: Header=BB18_212 Depth=2
	v_or_b32_e32 v28, 0x7e, v3
; %bb.353:                              ;   in Loop: Header=BB18_212 Depth=2
	s_or_b64 exec, exec, s[2:3]
                                        ; implicit-def: $vgpr4
.LBB18_354:                             ;   in Loop: Header=BB18_212 Depth=2
	s_andn2_saveexec_b64 s[2:3], s[10:11]
	s_cbranch_execz .LBB18_211
; %bb.355:                              ;   in Loop: Header=BB18_212 Depth=2
	v_or_b32_sdwa v28, v4, s91 dst_sel:DWORD dst_unused:UNUSED_PAD src0_sel:BYTE_3 src1_sel:DWORD
	s_branch .LBB18_211
.LBB18_356:                             ;   in Loop: Header=BB18_9 Depth=1
	s_or_b64 exec, exec, s[6:7]
.LBB18_357:                             ;   in Loop: Header=BB18_9 Depth=1
	s_or_b64 exec, exec, s[4:5]
	v_mov_b32_e32 v1, s68
	v_add_co_u32_e32 v32, vcc, s67, v18
	v_addc_co_u32_e32 v33, vcc, v1, v19, vcc
	v_and_b32_e32 v11, 15, v32
	v_cmp_ne_u64_e32 vcc, 0, v[11:12]
	s_or_b64 s[2:3], s[38:39], vcc
	s_and_saveexec_b64 s[4:5], s[2:3]
	s_xor_b64 s[54:55], exec, s[4:5]
	s_cbranch_execz .LBB18_556
; %bb.358:                              ;   in Loop: Header=BB18_9 Depth=1
	v_mov_b32_e32 v1, s70
	v_add_co_u32_e32 v34, vcc, s69, v15
	v_addc_co_u32_e32 v35, vcc, v1, v16, vcc
	v_sub_u32_e32 v1, 0, v32
	v_bfe_u32 v1, v1, 1, 3
	v_min_i32_e32 v15, s45, v1
	v_cmp_lt_i32_e32 vcc, v37, v15
	s_and_saveexec_b64 s[4:5], vcc
	s_cbranch_execz .LBB18_380
; %bb.359:                              ;   in Loop: Header=BB18_9 Depth=1
	v_lshlrev_b32_e32 v1, 1, v37
	v_add_co_u32_e32 v1, vcc, v32, v1
	v_addc_co_u32_e32 v2, vcc, 0, v33, vcc
	global_load_ushort v1, v[1:2], off
	s_waitcnt vmcnt(0)
	v_cvt_f32_f16_e32 v1, v1
	v_div_scale_f32 v2, s[2:3], s33, s33, v1
	v_div_scale_f32 v3, vcc, v1, s33, v1
	v_rcp_f32_e32 v4, v2
	v_fma_f32 v10, -v2, v4, 1.0
	v_fmac_f32_e32 v4, v10, v4
	v_mul_f32_e32 v10, v3, v4
	v_fma_f32 v11, -v2, v10, v3
	v_fmac_f32_e32 v10, v11, v4
	v_fma_f32 v2, -v2, v10, v3
	v_div_fmas_f32 v2, v2, v4, v10
	v_div_fixup_f32 v1, v2, s33, v1
	v_cvt_f16_f32_e32 v1, v1
                                        ; implicit-def: $vgpr2
	v_cvt_f32_f16_e32 v1, v1
	v_and_b32_e32 v11, 0x7f800000, v1
	v_cmp_ne_u64_e32 vcc, s[46:47], v[11:12]
	s_and_saveexec_b64 s[2:3], vcc
	s_xor_b64 s[6:7], exec, s[2:3]
	s_cbranch_execz .LBB18_377
; %bb.360:                              ;   in Loop: Header=BB18_9 Depth=1
	v_and_b32_e32 v11, 0x7fffffff, v1
	v_cmp_gt_u64_e32 vcc, s[48:49], v[11:12]
	v_and_b32_sdwa v4, v1, s87 dst_sel:DWORD dst_unused:UNUSED_PAD src0_sel:BYTE_3 src1_sel:DWORD
                                        ; implicit-def: $vgpr2
	s_and_saveexec_b64 s[2:3], vcc
	s_xor_b64 s[8:9], exec, s[2:3]
	s_cbranch_execz .LBB18_374
; %bb.361:                              ;   in Loop: Header=BB18_9 Depth=1
	v_cmp_ne_u32_e32 vcc, 0, v1
	v_mov_b32_e32 v2, 0
	s_and_saveexec_b64 s[10:11], vcc
	s_cbranch_execz .LBB18_373
; %bb.362:                              ;   in Loop: Header=BB18_9 Depth=1
	v_bfe_u32 v10, v1, 23, 8
	v_and_b32_e32 v3, 0x7fffff, v1
	v_sub_u32_e32 v1, 0x79, v10
	v_cmp_gt_u32_e32 vcc, s88, v10
	v_cndmask_b32_e32 v1, 0, v1, vcc
	v_cmp_eq_u32_e32 vcc, 0, v10
	v_cndmask_b32_e32 v16, v1, v49, vcc
	v_add_u32_e32 v1, 20, v16
	v_or_b32_e32 v11, 0x800000, v3
	v_lshlrev_b64 v[1:2], v1, -1
	v_cndmask_b32_e32 v11, v11, v3, vcc
	v_bfi_b32 v17, v1, 0, v11
	v_add_u32_e32 v1, 19, v16
	v_bfi_b32 v18, v2, 0, 0
	v_lshlrev_b64 v[19:20], v1, 1
	v_lshrrev_b64 v[1:2], v16, v[11:12]
	v_cmp_eq_u64_e64 s[2:3], v[17:18], v[19:20]
	v_mov_b32_e32 v3, v2
	v_mov_b32_e32 v2, v1
	s_and_saveexec_b64 s[12:13], s[2:3]
; %bb.363:                              ;   in Loop: Header=BB18_9 Depth=1
	v_bfe_u32 v2, v1, 20, 1
	v_add_co_u32_e64 v2, s[2:3], v1, v2
	v_add_co_u32_e64 v2, s[2:3], -1, v2
; %bb.364:                              ;   in Loop: Header=BB18_9 Depth=1
	s_or_b64 exec, exec, s[12:13]
	v_add_u32_e32 v3, 0xffffff81, v10
	v_cndmask_b32_e32 v3, v3, v50, vcc
	v_lshrrev_b32_e32 v10, 23, v1
	v_add3_u32 v16, v16, v3, v10
	v_add_u32_e32 v10, 6, v16
	v_and_b32_e32 v2, 0xfffff, v2
	v_add_u32_e32 v11, v2, v1
	v_cmp_ne_u32_e32 vcc, 0, v10
                                        ; implicit-def: $vgpr1_vgpr2
                                        ; implicit-def: $vgpr3
	s_and_saveexec_b64 s[2:3], vcc
	s_xor_b64 s[2:3], exec, s[2:3]
; %bb.365:                              ;   in Loop: Header=BB18_9 Depth=1
	v_cmp_lt_u64_e32 vcc, s[50:51], v[11:12]
	v_add_u32_e32 v1, 7, v16
	v_cndmask_b32_e32 v3, v10, v1, vcc
	v_cndmask_b32_e64 v1, 0, 1, vcc
	v_lshrrev_b64 v[1:2], v1, v[11:12]
; %bb.366:                              ;   in Loop: Header=BB18_9 Depth=1
	s_andn2_saveexec_b64 s[2:3], s[2:3]
; %bb.367:                              ;   in Loop: Header=BB18_9 Depth=1
	v_mov_b32_e32 v1, v11
	v_bfe_u32 v3, v11, 23, 1
	v_mov_b32_e32 v2, v12
; %bb.368:                              ;   in Loop: Header=BB18_9 Depth=1
	s_or_b64 exec, exec, s[2:3]
	v_lshrrev_b64 v[1:2], 20, v[1:2]
	v_cmp_gt_i32_e32 vcc, 16, v3
	v_cndmask_b32_e32 v2, 0, v2, vcc
	v_cndmask_b32_e32 v1, 7, v1, vcc
	v_cmp_ne_u64_e32 vcc, 0, v[1:2]
	v_cmp_ne_u32_e64 s[2:3], 0, v3
	s_or_b64 s[2:3], s[2:3], vcc
                                        ; implicit-def: $vgpr2
	s_and_saveexec_b64 s[12:13], s[2:3]
	s_xor_b64 s[2:3], exec, s[12:13]
; %bb.369:                              ;   in Loop: Header=BB18_9 Depth=1
	v_min_i32_e32 v2, 15, v3
	v_lshl_or_b32 v2, v2, 3, v4
	v_and_or_b32 v2, v1, 7, v2
                                        ; implicit-def: $vgpr4
; %bb.370:                              ;   in Loop: Header=BB18_9 Depth=1
	s_andn2_saveexec_b64 s[2:3], s[2:3]
; %bb.371:                              ;   in Loop: Header=BB18_9 Depth=1
	v_mov_b32_e32 v2, v4
; %bb.372:                              ;   in Loop: Header=BB18_9 Depth=1
	s_or_b64 exec, exec, s[2:3]
.LBB18_373:                             ;   in Loop: Header=BB18_9 Depth=1
	s_or_b64 exec, exec, s[10:11]
                                        ; implicit-def: $vgpr4
.LBB18_374:                             ;   in Loop: Header=BB18_9 Depth=1
	s_andn2_saveexec_b64 s[2:3], s[8:9]
; %bb.375:                              ;   in Loop: Header=BB18_9 Depth=1
	v_or_b32_e32 v2, 0x7e, v4
; %bb.376:                              ;   in Loop: Header=BB18_9 Depth=1
	s_or_b64 exec, exec, s[2:3]
                                        ; implicit-def: $vgpr1
.LBB18_377:                             ;   in Loop: Header=BB18_9 Depth=1
	s_andn2_saveexec_b64 s[2:3], s[6:7]
; %bb.378:                              ;   in Loop: Header=BB18_9 Depth=1
	v_or_b32_sdwa v2, v1, s91 dst_sel:DWORD dst_unused:UNUSED_PAD src0_sel:BYTE_3 src1_sel:DWORD
; %bb.379:                              ;   in Loop: Header=BB18_9 Depth=1
	s_or_b64 exec, exec, s[2:3]
	v_add_co_u32_e32 v3, vcc, v34, v37
	v_addc_co_u32_e32 v4, vcc, 0, v35, vcc
	global_store_byte v[3:4], v2, off
.LBB18_380:                             ;   in Loop: Header=BB18_9 Depth=1
	s_or_b64 exec, exec, s[4:5]
	v_sub_u32_e32 v31, s45, v15
	v_ashrrev_i32_e32 v1, 31, v31
	v_lshrrev_b32_e32 v1, 29, v1
	v_ashrrev_i32_e32 v16, 31, v15
	v_add_u32_e32 v1, v31, v1
	v_ashrrev_i32_e32 v51, 3, v1
	v_lshlrev_b64 v[17:18], 1, v[15:16]
	v_cmp_lt_i32_e32 vcc, v37, v51
	s_and_saveexec_b64 s[4:5], vcc
	s_cbranch_execz .LBB18_527
; %bb.381:                              ;   in Loop: Header=BB18_9 Depth=1
	v_add_co_u32_e32 v19, vcc, v7, v15
	v_addc_co_u32_e32 v20, vcc, v8, v16, vcc
	v_add_co_u32_e32 v1, vcc, v17, v13
	v_addc_co_u32_e32 v2, vcc, v18, v14, vcc
	s_waitcnt vmcnt(2)
	v_add_co_u32_e32 v21, vcc, v48, v1
	s_waitcnt vmcnt(1)
	v_addc_co_u32_e32 v22, vcc, v60, v2, vcc
	s_mov_b64 s[6:7], 0
	v_mov_b32_e32 v52, v37
	s_branch .LBB18_383
.LBB18_382:                             ;   in Loop: Header=BB18_383 Depth=2
	s_or_b64 exec, exec, s[2:3]
	v_lshlrev_b32_e32 v4, 16, v26
	v_lshlrev_b32_e32 v3, 24, v27
	v_and_b32_e32 v4, 0xff0000, v4
	v_lshlrev_b32_e32 v2, 8, v2
	v_or_b32_e32 v3, v3, v4
	v_and_b32_e32 v2, 0xff00, v2
	v_and_b32_e32 v4, 0xff, v25
	v_or3_b32 v2, v3, v2, v4
	v_lshlrev_b32_e32 v3, 16, v24
	v_lshlrev_b32_e32 v4, 8, v23
	v_perm_b32 v1, v1, v3, s93
	v_and_or_b32 v1, v4, s92, v1
	v_or_b32_sdwa v1, v1, v10 dst_sel:DWORD dst_unused:UNUSED_PAD src0_sel:DWORD src1_sel:BYTE_0
	global_store_dwordx2 v[19:20], v[1:2], off
	v_add_co_u32_e32 v19, vcc, 0x100, v19
	v_add_u32_e32 v52, 32, v52
	v_addc_co_u32_e32 v20, vcc, 0, v20, vcc
	v_add_co_u32_e32 v21, vcc, 0x200, v21
	v_cmp_ge_i32_e64 s[2:3], v52, v51
	s_or_b64 s[6:7], s[2:3], s[6:7]
	v_addc_co_u32_e32 v22, vcc, 0, v22, vcc
	s_andn2_b64 exec, exec, s[6:7]
	s_cbranch_execz .LBB18_527
.LBB18_383:                             ;   Parent Loop BB18_9 Depth=1
                                        ; =>  This Inner Loop Header: Depth=2
	global_load_dwordx4 v[1:4], v[21:22], off
	s_waitcnt vmcnt(0)
	v_cvt_f32_f16_e32 v10, v1
	v_div_scale_f32 v11, s[2:3], s33, s33, v10
	v_div_scale_f32 v23, vcc, v10, s33, v10
	v_rcp_f32_e32 v24, v11
	v_fma_f32 v25, -v11, v24, 1.0
	v_fmac_f32_e32 v24, v25, v24
	v_mul_f32_e32 v25, v23, v24
	v_fma_f32 v26, -v11, v25, v23
	v_fmac_f32_e32 v25, v26, v24
	v_fma_f32 v11, -v11, v25, v23
	v_div_fmas_f32 v11, v11, v24, v25
	v_div_fixup_f32 v10, v11, s33, v10
	v_cvt_f16_f32_e32 v10, v10
	v_cvt_f32_f16_e32 v24, v10
	v_and_b32_e32 v11, 0x7f800000, v24
	v_cmp_ne_u64_e32 vcc, s[46:47], v[11:12]
                                        ; implicit-def: $vgpr10_vgpr11
	s_and_saveexec_b64 s[2:3], vcc
	s_xor_b64 s[8:9], exec, s[2:3]
	s_cbranch_execz .LBB18_399
; %bb.384:                              ;   in Loop: Header=BB18_383 Depth=2
	v_and_b32_e32 v11, 0x7fffffff, v24
	v_cmp_gt_u64_e32 vcc, s[48:49], v[11:12]
	v_and_b32_sdwa v23, v24, s87 dst_sel:DWORD dst_unused:UNUSED_PAD src0_sel:BYTE_3 src1_sel:DWORD
                                        ; implicit-def: $vgpr10_vgpr11
	s_and_saveexec_b64 s[2:3], vcc
	s_xor_b64 s[10:11], exec, s[2:3]
	s_cbranch_execz .LBB18_396
; %bb.385:                              ;   in Loop: Header=BB18_383 Depth=2
	v_mov_b32_e32 v10, 0
	v_cmp_ne_u32_e32 vcc, 0, v24
	v_mov_b32_e32 v11, 0
	s_and_saveexec_b64 s[12:13], vcc
	s_cbranch_execz .LBB18_395
; %bb.386:                              ;   in Loop: Header=BB18_383 Depth=2
	v_bfe_u32 v26, v24, 23, 8
	v_sub_u32_e32 v11, 0x79, v26
	v_cmp_gt_u32_e32 vcc, s88, v26
	v_cndmask_b32_e32 v11, 0, v11, vcc
	v_cmp_eq_u32_e32 vcc, 0, v26
	v_cndmask_b32_e32 v27, v11, v49, vcc
	v_and_b32_e32 v10, 0x7fffff, v24
	v_add_u32_e32 v11, 20, v27
	v_or_b32_e32 v28, 0x800000, v10
	v_lshlrev_b64 v[24:25], v11, -1
	v_cndmask_b32_e32 v11, v28, v10, vcc
	v_add_u32_e32 v10, 19, v27
	v_bfi_b32 v24, v24, 0, v11
	v_lshlrev_b64 v[28:29], v10, 1
	v_lshrrev_b64 v[10:11], v27, v[11:12]
	v_bfi_b32 v25, v25, 0, 0
	v_cmp_eq_u64_e64 s[2:3], v[24:25], v[28:29]
	v_mov_b32_e32 v25, v11
	v_mov_b32_e32 v24, v10
	s_and_saveexec_b64 s[14:15], s[2:3]
; %bb.387:                              ;   in Loop: Header=BB18_383 Depth=2
	v_bfe_u32 v11, v10, 20, 1
	v_add_co_u32_e64 v11, s[2:3], v10, v11
	v_add_co_u32_e64 v24, s[2:3], -1, v11
; %bb.388:                              ;   in Loop: Header=BB18_383 Depth=2
	s_or_b64 exec, exec, s[14:15]
	v_add_u32_e32 v11, 0xffffff81, v26
	v_cndmask_b32_e32 v11, v11, v50, vcc
	v_lshrrev_b32_e32 v25, 23, v10
	v_add3_u32 v28, v27, v11, v25
	v_add_u32_e32 v27, 6, v28
	v_and_b32_e32 v11, 0xfffff, v24
	v_add_u32_e32 v11, v11, v10
	v_cmp_ne_u32_e32 vcc, 0, v27
                                        ; implicit-def: $vgpr24_vgpr25
                                        ; implicit-def: $vgpr26
	s_and_saveexec_b64 s[2:3], vcc
	s_xor_b64 s[2:3], exec, s[2:3]
; %bb.389:                              ;   in Loop: Header=BB18_383 Depth=2
	v_cmp_lt_u64_e32 vcc, s[50:51], v[11:12]
	v_add_u32_e32 v10, 7, v28
	v_cndmask_b32_e32 v26, v27, v10, vcc
	v_cndmask_b32_e64 v10, 0, 1, vcc
	v_lshrrev_b64 v[24:25], v10, v[11:12]
; %bb.390:                              ;   in Loop: Header=BB18_383 Depth=2
	s_andn2_saveexec_b64 s[2:3], s[2:3]
; %bb.391:                              ;   in Loop: Header=BB18_383 Depth=2
	v_mov_b32_e32 v25, v12
	v_bfe_u32 v26, v11, 23, 1
	v_mov_b32_e32 v24, v11
; %bb.392:                              ;   in Loop: Header=BB18_383 Depth=2
	s_or_b64 exec, exec, s[2:3]
	v_lshrrev_b64 v[10:11], 20, v[24:25]
	v_cmp_gt_i32_e32 vcc, 16, v26
	v_cndmask_b32_e32 v25, 0, v11, vcc
	v_cndmask_b32_e32 v24, 7, v10, vcc
	v_cmp_ne_u64_e32 vcc, 0, v[24:25]
	v_cmp_ne_u32_e64 s[2:3], 0, v26
	s_or_b64 s[2:3], s[2:3], vcc
	v_mov_b32_e32 v10, v23
	v_mov_b32_e32 v11, v24
	s_and_saveexec_b64 s[14:15], s[2:3]
	s_xor_b64 s[2:3], exec, s[14:15]
; %bb.393:                              ;   in Loop: Header=BB18_383 Depth=2
	v_min_i32_e32 v10, 15, v26
	v_lshl_or_b32 v10, v10, 3, v23
	v_and_or_b32 v10, v24, 7, v10
; %bb.394:                              ;   in Loop: Header=BB18_383 Depth=2
	s_andn2_saveexec_b64 s[2:3], s[2:3]
	s_or_b64 exec, exec, s[2:3]
.LBB18_395:                             ;   in Loop: Header=BB18_383 Depth=2
	s_or_b64 exec, exec, s[12:13]
                                        ; implicit-def: $vgpr23
.LBB18_396:                             ;   in Loop: Header=BB18_383 Depth=2
	s_andn2_saveexec_b64 s[2:3], s[10:11]
; %bb.397:                              ;   in Loop: Header=BB18_383 Depth=2
	v_or_b32_e32 v10, 0x7e, v23
; %bb.398:                              ;   in Loop: Header=BB18_383 Depth=2
	s_or_b64 exec, exec, s[2:3]
                                        ; implicit-def: $vgpr24
.LBB18_399:                             ;   in Loop: Header=BB18_383 Depth=2
	s_andn2_saveexec_b64 s[2:3], s[8:9]
; %bb.400:                              ;   in Loop: Header=BB18_383 Depth=2
	v_or_b32_sdwa v10, v24, s91 dst_sel:DWORD dst_unused:UNUSED_PAD src0_sel:BYTE_3 src1_sel:DWORD
; %bb.401:                              ;   in Loop: Header=BB18_383 Depth=2
	s_or_b64 exec, exec, s[2:3]
	v_cvt_f32_f16_sdwa v1, v1 dst_sel:DWORD dst_unused:UNUSED_PAD src0_sel:WORD_1
	v_div_scale_f32 v11, s[2:3], s33, s33, v1
	v_div_scale_f32 v23, vcc, v1, s33, v1
	v_rcp_f32_e32 v24, v11
	v_fma_f32 v25, -v11, v24, 1.0
	v_fmac_f32_e32 v24, v25, v24
	v_mul_f32_e32 v25, v23, v24
	v_fma_f32 v26, -v11, v25, v23
	v_fmac_f32_e32 v25, v26, v24
	v_fma_f32 v11, -v11, v25, v23
	v_div_fmas_f32 v11, v11, v24, v25
                                        ; implicit-def: $vgpr23_vgpr24
	v_div_fixup_f32 v1, v11, s33, v1
	v_cvt_f16_f32_e32 v1, v1
	v_cvt_f32_f16_e32 v25, v1
	v_and_b32_e32 v11, 0x7f800000, v25
	v_cmp_ne_u64_e32 vcc, s[46:47], v[11:12]
	s_and_saveexec_b64 s[2:3], vcc
	s_xor_b64 s[8:9], exec, s[2:3]
	s_cbranch_execz .LBB18_417
; %bb.402:                              ;   in Loop: Header=BB18_383 Depth=2
	v_and_b32_e32 v11, 0x7fffffff, v25
	v_cmp_gt_u64_e32 vcc, s[48:49], v[11:12]
	v_and_b32_sdwa v1, v25, s87 dst_sel:DWORD dst_unused:UNUSED_PAD src0_sel:BYTE_3 src1_sel:DWORD
                                        ; implicit-def: $vgpr23_vgpr24
	s_and_saveexec_b64 s[2:3], vcc
	s_xor_b64 s[10:11], exec, s[2:3]
	s_cbranch_execz .LBB18_414
; %bb.403:                              ;   in Loop: Header=BB18_383 Depth=2
	v_mov_b32_e32 v23, 0
	v_cmp_ne_u32_e32 vcc, 0, v25
	v_mov_b32_e32 v24, 0
	s_and_saveexec_b64 s[12:13], vcc
	s_cbranch_execz .LBB18_413
; %bb.404:                              ;   in Loop: Header=BB18_383 Depth=2
	v_bfe_u32 v26, v25, 23, 8
	v_sub_u32_e32 v23, 0x79, v26
	v_cmp_gt_u32_e32 vcc, s88, v26
	v_cndmask_b32_e32 v23, 0, v23, vcc
	v_cmp_eq_u32_e32 vcc, 0, v26
	v_cndmask_b32_e32 v27, v23, v49, vcc
	v_and_b32_e32 v11, 0x7fffff, v25
	v_add_u32_e32 v23, 20, v27
	v_or_b32_e32 v25, 0x800000, v11
	v_lshlrev_b64 v[23:24], v23, -1
	v_cndmask_b32_e32 v11, v25, v11, vcc
	v_bfi_b32 v28, v23, 0, v11
	v_add_u32_e32 v23, 19, v27
	v_bfi_b32 v29, v24, 0, 0
	v_lshlrev_b64 v[38:39], v23, 1
	v_lshrrev_b64 v[23:24], v27, v[11:12]
	v_cmp_eq_u64_e64 s[2:3], v[28:29], v[38:39]
	v_mov_b32_e32 v25, v24
	v_mov_b32_e32 v24, v23
	s_and_saveexec_b64 s[14:15], s[2:3]
; %bb.405:                              ;   in Loop: Header=BB18_383 Depth=2
	v_bfe_u32 v11, v23, 20, 1
	v_add_co_u32_e64 v11, s[2:3], v23, v11
	v_add_co_u32_e64 v24, s[2:3], -1, v11
; %bb.406:                              ;   in Loop: Header=BB18_383 Depth=2
	s_or_b64 exec, exec, s[14:15]
	v_add_u32_e32 v11, 0xffffff81, v26
	v_cndmask_b32_e32 v11, v11, v50, vcc
	v_lshrrev_b32_e32 v25, 23, v23
	v_add3_u32 v26, v27, v11, v25
	v_add_u32_e32 v25, 6, v26
	v_and_b32_e32 v11, 0xfffff, v24
	v_add_u32_e32 v11, v11, v23
	v_cmp_ne_u32_e32 vcc, 0, v25
                                        ; implicit-def: $vgpr23_vgpr24
                                        ; implicit-def: $vgpr27
	s_and_saveexec_b64 s[2:3], vcc
	s_xor_b64 s[2:3], exec, s[2:3]
; %bb.407:                              ;   in Loop: Header=BB18_383 Depth=2
	v_cmp_lt_u64_e32 vcc, s[50:51], v[11:12]
	v_add_u32_e32 v23, 7, v26
	v_cndmask_b32_e32 v27, v25, v23, vcc
	v_cndmask_b32_e64 v23, 0, 1, vcc
	v_lshrrev_b64 v[23:24], v23, v[11:12]
; %bb.408:                              ;   in Loop: Header=BB18_383 Depth=2
	s_andn2_saveexec_b64 s[2:3], s[2:3]
; %bb.409:                              ;   in Loop: Header=BB18_383 Depth=2
	v_mov_b32_e32 v24, v12
	v_bfe_u32 v27, v11, 23, 1
	v_mov_b32_e32 v23, v11
; %bb.410:                              ;   in Loop: Header=BB18_383 Depth=2
	s_or_b64 exec, exec, s[2:3]
	v_lshrrev_b64 v[23:24], 20, v[23:24]
	v_cmp_gt_i32_e32 vcc, 16, v27
	v_cndmask_b32_e32 v26, 0, v24, vcc
	v_cndmask_b32_e32 v25, 7, v23, vcc
	v_cmp_ne_u64_e32 vcc, 0, v[25:26]
	v_cmp_ne_u32_e64 s[2:3], 0, v27
	v_mov_b32_e32 v24, v2
	s_or_b64 s[2:3], s[2:3], vcc
	v_mov_b32_e32 v23, v1
	s_and_saveexec_b64 s[14:15], s[2:3]
	s_xor_b64 s[2:3], exec, s[14:15]
; %bb.411:                              ;   in Loop: Header=BB18_383 Depth=2
	v_min_i32_e32 v11, 15, v27
	v_lshl_or_b32 v1, v11, 3, v1
	v_and_or_b32 v23, v25, 7, v1
; %bb.412:                              ;   in Loop: Header=BB18_383 Depth=2
	s_andn2_saveexec_b64 s[2:3], s[2:3]
	s_or_b64 exec, exec, s[2:3]
.LBB18_413:                             ;   in Loop: Header=BB18_383 Depth=2
	s_or_b64 exec, exec, s[12:13]
                                        ; implicit-def: $vgpr1
.LBB18_414:                             ;   in Loop: Header=BB18_383 Depth=2
	s_andn2_saveexec_b64 s[2:3], s[10:11]
; %bb.415:                              ;   in Loop: Header=BB18_383 Depth=2
	v_or_b32_e32 v23, 0x7e, v1
; %bb.416:                              ;   in Loop: Header=BB18_383 Depth=2
	s_or_b64 exec, exec, s[2:3]
                                        ; implicit-def: $vgpr25
.LBB18_417:                             ;   in Loop: Header=BB18_383 Depth=2
	s_andn2_saveexec_b64 s[2:3], s[8:9]
; %bb.418:                              ;   in Loop: Header=BB18_383 Depth=2
	v_or_b32_sdwa v23, v25, s91 dst_sel:DWORD dst_unused:UNUSED_PAD src0_sel:BYTE_3 src1_sel:DWORD
; %bb.419:                              ;   in Loop: Header=BB18_383 Depth=2
	s_or_b64 exec, exec, s[2:3]
	v_cvt_f32_f16_e32 v1, v2
	v_div_scale_f32 v11, s[2:3], s33, s33, v1
	v_div_scale_f32 v24, vcc, v1, s33, v1
	v_rcp_f32_e32 v25, v11
	v_fma_f32 v26, -v11, v25, 1.0
	v_fmac_f32_e32 v25, v26, v25
	v_mul_f32_e32 v26, v24, v25
	v_fma_f32 v27, -v11, v26, v24
	v_fmac_f32_e32 v26, v27, v25
	v_fma_f32 v11, -v11, v26, v24
	v_div_fmas_f32 v11, v11, v25, v26
                                        ; implicit-def: $vgpr24_vgpr25
	v_div_fixup_f32 v1, v11, s33, v1
	v_cvt_f16_f32_e32 v1, v1
	v_cvt_f32_f16_e32 v26, v1
	v_and_b32_e32 v11, 0x7f800000, v26
	v_cmp_ne_u64_e32 vcc, s[46:47], v[11:12]
	s_and_saveexec_b64 s[2:3], vcc
	s_xor_b64 s[8:9], exec, s[2:3]
	s_cbranch_execz .LBB18_435
; %bb.420:                              ;   in Loop: Header=BB18_383 Depth=2
	v_and_b32_e32 v11, 0x7fffffff, v26
	v_cmp_gt_u64_e32 vcc, s[48:49], v[11:12]
	v_and_b32_sdwa v1, v26, s87 dst_sel:DWORD dst_unused:UNUSED_PAD src0_sel:BYTE_3 src1_sel:DWORD
                                        ; implicit-def: $vgpr24_vgpr25
	s_and_saveexec_b64 s[2:3], vcc
	s_xor_b64 s[10:11], exec, s[2:3]
	s_cbranch_execz .LBB18_432
; %bb.421:                              ;   in Loop: Header=BB18_383 Depth=2
	v_mov_b32_e32 v24, 0
	v_cmp_ne_u32_e32 vcc, 0, v26
	v_mov_b32_e32 v25, 0
	s_and_saveexec_b64 s[12:13], vcc
	s_cbranch_execz .LBB18_431
; %bb.422:                              ;   in Loop: Header=BB18_383 Depth=2
	v_bfe_u32 v27, v26, 23, 8
	v_sub_u32_e32 v24, 0x79, v27
	v_cmp_gt_u32_e32 vcc, s88, v27
	v_cndmask_b32_e32 v24, 0, v24, vcc
	v_cmp_eq_u32_e32 vcc, 0, v27
	v_cndmask_b32_e32 v28, v24, v49, vcc
	v_and_b32_e32 v11, 0x7fffff, v26
	v_add_u32_e32 v24, 20, v28
	v_or_b32_e32 v26, 0x800000, v11
	v_lshlrev_b64 v[24:25], v24, -1
	v_cndmask_b32_e32 v11, v26, v11, vcc
	v_bfi_b32 v29, v24, 0, v11
	v_add_u32_e32 v24, 19, v28
	v_bfi_b32 v30, v25, 0, 0
	v_lshlrev_b64 v[38:39], v24, 1
	v_lshrrev_b64 v[24:25], v28, v[11:12]
	v_cmp_eq_u64_e64 s[2:3], v[29:30], v[38:39]
	v_mov_b32_e32 v26, v25
	v_mov_b32_e32 v25, v24
	s_and_saveexec_b64 s[14:15], s[2:3]
; %bb.423:                              ;   in Loop: Header=BB18_383 Depth=2
	v_bfe_u32 v11, v24, 20, 1
	v_add_co_u32_e64 v11, s[2:3], v24, v11
	v_add_co_u32_e64 v25, s[2:3], -1, v11
; %bb.424:                              ;   in Loop: Header=BB18_383 Depth=2
	s_or_b64 exec, exec, s[14:15]
	v_add_u32_e32 v11, 0xffffff81, v27
	v_cndmask_b32_e32 v11, v11, v50, vcc
	v_lshrrev_b32_e32 v26, 23, v24
	v_add3_u32 v27, v28, v11, v26
	v_add_u32_e32 v26, 6, v27
	v_and_b32_e32 v11, 0xfffff, v25
	v_add_u32_e32 v11, v11, v24
	v_cmp_ne_u32_e32 vcc, 0, v26
                                        ; implicit-def: $vgpr24_vgpr25
                                        ; implicit-def: $vgpr28
	s_and_saveexec_b64 s[2:3], vcc
	s_xor_b64 s[2:3], exec, s[2:3]
; %bb.425:                              ;   in Loop: Header=BB18_383 Depth=2
	v_cmp_lt_u64_e32 vcc, s[50:51], v[11:12]
	v_add_u32_e32 v24, 7, v27
	v_cndmask_b32_e32 v28, v26, v24, vcc
	v_cndmask_b32_e64 v24, 0, 1, vcc
	v_lshrrev_b64 v[24:25], v24, v[11:12]
; %bb.426:                              ;   in Loop: Header=BB18_383 Depth=2
	s_andn2_saveexec_b64 s[2:3], s[2:3]
; %bb.427:                              ;   in Loop: Header=BB18_383 Depth=2
	v_mov_b32_e32 v25, v12
	v_bfe_u32 v28, v11, 23, 1
	v_mov_b32_e32 v24, v11
; %bb.428:                              ;   in Loop: Header=BB18_383 Depth=2
	s_or_b64 exec, exec, s[2:3]
	v_lshrrev_b64 v[24:25], 20, v[24:25]
	v_cmp_gt_i32_e32 vcc, 16, v28
	v_cndmask_b32_e32 v27, 0, v25, vcc
	v_cndmask_b32_e32 v26, 7, v24, vcc
	v_cmp_ne_u64_e32 vcc, 0, v[26:27]
	v_cmp_ne_u32_e64 s[2:3], 0, v28
	v_mov_b32_e32 v25, v2
	s_or_b64 s[2:3], s[2:3], vcc
	v_mov_b32_e32 v24, v1
	s_and_saveexec_b64 s[14:15], s[2:3]
	s_xor_b64 s[2:3], exec, s[14:15]
; %bb.429:                              ;   in Loop: Header=BB18_383 Depth=2
	v_min_i32_e32 v11, 15, v28
	v_lshl_or_b32 v1, v11, 3, v1
	v_and_or_b32 v24, v26, 7, v1
; %bb.430:                              ;   in Loop: Header=BB18_383 Depth=2
	s_andn2_saveexec_b64 s[2:3], s[2:3]
	s_or_b64 exec, exec, s[2:3]
.LBB18_431:                             ;   in Loop: Header=BB18_383 Depth=2
	s_or_b64 exec, exec, s[12:13]
                                        ; implicit-def: $vgpr1
.LBB18_432:                             ;   in Loop: Header=BB18_383 Depth=2
	s_andn2_saveexec_b64 s[2:3], s[10:11]
; %bb.433:                              ;   in Loop: Header=BB18_383 Depth=2
	v_or_b32_e32 v24, 0x7e, v1
; %bb.434:                              ;   in Loop: Header=BB18_383 Depth=2
	s_or_b64 exec, exec, s[2:3]
                                        ; implicit-def: $vgpr26
.LBB18_435:                             ;   in Loop: Header=BB18_383 Depth=2
	s_andn2_saveexec_b64 s[2:3], s[8:9]
; %bb.436:                              ;   in Loop: Header=BB18_383 Depth=2
	v_or_b32_sdwa v24, v26, s91 dst_sel:DWORD dst_unused:UNUSED_PAD src0_sel:BYTE_3 src1_sel:DWORD
; %bb.437:                              ;   in Loop: Header=BB18_383 Depth=2
	s_or_b64 exec, exec, s[2:3]
	v_cvt_f32_f16_sdwa v1, v2 dst_sel:DWORD dst_unused:UNUSED_PAD src0_sel:WORD_1
	v_div_scale_f32 v2, s[2:3], s33, s33, v1
	v_div_scale_f32 v11, vcc, v1, s33, v1
	v_rcp_f32_e32 v25, v2
	v_fma_f32 v26, -v2, v25, 1.0
	v_fmac_f32_e32 v25, v26, v25
	v_mul_f32_e32 v26, v11, v25
	v_fma_f32 v27, -v2, v26, v11
	v_fmac_f32_e32 v26, v27, v25
	v_fma_f32 v2, -v2, v26, v11
	v_div_fmas_f32 v2, v2, v25, v26
	v_div_fixup_f32 v1, v2, s33, v1
	v_cvt_f16_f32_e32 v1, v1
	v_cvt_f32_f16_e32 v26, v1
                                        ; implicit-def: $vgpr1_vgpr2
	v_and_b32_e32 v11, 0x7f800000, v26
	v_cmp_ne_u64_e32 vcc, s[46:47], v[11:12]
	s_and_saveexec_b64 s[2:3], vcc
	s_xor_b64 s[8:9], exec, s[2:3]
	s_cbranch_execz .LBB18_453
; %bb.438:                              ;   in Loop: Header=BB18_383 Depth=2
	v_and_b32_e32 v11, 0x7fffffff, v26
	v_cmp_gt_u64_e32 vcc, s[48:49], v[11:12]
	v_and_b32_sdwa v25, v26, s87 dst_sel:DWORD dst_unused:UNUSED_PAD src0_sel:BYTE_3 src1_sel:DWORD
                                        ; implicit-def: $vgpr1_vgpr2
	s_and_saveexec_b64 s[2:3], vcc
	s_xor_b64 s[10:11], exec, s[2:3]
	s_cbranch_execz .LBB18_450
; %bb.439:                              ;   in Loop: Header=BB18_383 Depth=2
	v_mov_b32_e32 v1, 0
	v_cmp_ne_u32_e32 vcc, 0, v26
	v_mov_b32_e32 v2, 0
	s_and_saveexec_b64 s[12:13], vcc
	s_cbranch_execz .LBB18_449
; %bb.440:                              ;   in Loop: Header=BB18_383 Depth=2
	v_bfe_u32 v28, v26, 23, 8
	v_sub_u32_e32 v1, 0x79, v28
	v_cmp_gt_u32_e32 vcc, s88, v28
	v_cndmask_b32_e32 v1, 0, v1, vcc
	v_cmp_eq_u32_e32 vcc, 0, v28
	v_cndmask_b32_e32 v29, v1, v49, vcc
	v_and_b32_e32 v11, 0x7fffff, v26
	v_add_u32_e32 v1, 20, v29
	v_or_b32_e32 v26, 0x800000, v11
	v_lshlrev_b64 v[1:2], v1, -1
	v_cndmask_b32_e32 v11, v26, v11, vcc
	v_bfi_b32 v26, v1, 0, v11
	v_add_u32_e32 v1, 19, v29
	v_bfi_b32 v27, v2, 0, 0
	v_lshlrev_b64 v[38:39], v1, 1
	v_lshrrev_b64 v[1:2], v29, v[11:12]
	v_cmp_eq_u64_e64 s[2:3], v[26:27], v[38:39]
	v_mov_b32_e32 v27, v2
	v_mov_b32_e32 v26, v1
	s_and_saveexec_b64 s[14:15], s[2:3]
; %bb.441:                              ;   in Loop: Header=BB18_383 Depth=2
	v_bfe_u32 v2, v1, 20, 1
	v_add_co_u32_e64 v2, s[2:3], v1, v2
	v_add_co_u32_e64 v26, s[2:3], -1, v2
; %bb.442:                              ;   in Loop: Header=BB18_383 Depth=2
	s_or_b64 exec, exec, s[14:15]
	v_add_u32_e32 v2, 0xffffff81, v28
	v_cndmask_b32_e32 v2, v2, v50, vcc
	v_lshrrev_b32_e32 v11, 23, v1
	v_add3_u32 v29, v29, v2, v11
	v_add_u32_e32 v27, 6, v29
	v_and_b32_e32 v2, 0xfffff, v26
	v_add_u32_e32 v11, v2, v1
	v_cmp_ne_u32_e32 vcc, 0, v27
                                        ; implicit-def: $vgpr1_vgpr2
                                        ; implicit-def: $vgpr28
	s_and_saveexec_b64 s[2:3], vcc
	s_xor_b64 s[2:3], exec, s[2:3]
; %bb.443:                              ;   in Loop: Header=BB18_383 Depth=2
	v_cmp_lt_u64_e32 vcc, s[50:51], v[11:12]
	v_add_u32_e32 v1, 7, v29
	v_cndmask_b32_e32 v28, v27, v1, vcc
	v_cndmask_b32_e64 v1, 0, 1, vcc
	v_lshrrev_b64 v[1:2], v1, v[11:12]
; %bb.444:                              ;   in Loop: Header=BB18_383 Depth=2
	s_andn2_saveexec_b64 s[2:3], s[2:3]
; %bb.445:                              ;   in Loop: Header=BB18_383 Depth=2
	v_mov_b32_e32 v1, v11
	v_bfe_u32 v28, v11, 23, 1
	v_mov_b32_e32 v2, v12
; %bb.446:                              ;   in Loop: Header=BB18_383 Depth=2
	s_or_b64 exec, exec, s[2:3]
	v_lshrrev_b64 v[1:2], 20, v[1:2]
	v_cmp_gt_i32_e32 vcc, 16, v28
	v_cndmask_b32_e32 v27, 0, v2, vcc
	v_cndmask_b32_e32 v26, 7, v1, vcc
	v_cmp_ne_u64_e32 vcc, 0, v[26:27]
	v_cmp_ne_u32_e64 s[2:3], 0, v28
	s_or_b64 s[2:3], s[2:3], vcc
	v_mov_b32_e32 v1, v25
	v_mov_b32_e32 v2, v26
	s_and_saveexec_b64 s[14:15], s[2:3]
	s_xor_b64 s[2:3], exec, s[14:15]
; %bb.447:                              ;   in Loop: Header=BB18_383 Depth=2
	v_min_i32_e32 v1, 15, v28
	v_lshl_or_b32 v1, v1, 3, v25
	v_and_or_b32 v1, v26, 7, v1
; %bb.448:                              ;   in Loop: Header=BB18_383 Depth=2
	s_andn2_saveexec_b64 s[2:3], s[2:3]
	s_or_b64 exec, exec, s[2:3]
.LBB18_449:                             ;   in Loop: Header=BB18_383 Depth=2
	s_or_b64 exec, exec, s[12:13]
                                        ; implicit-def: $vgpr25
.LBB18_450:                             ;   in Loop: Header=BB18_383 Depth=2
	s_andn2_saveexec_b64 s[2:3], s[10:11]
; %bb.451:                              ;   in Loop: Header=BB18_383 Depth=2
	v_or_b32_e32 v1, 0x7e, v25
; %bb.452:                              ;   in Loop: Header=BB18_383 Depth=2
	s_or_b64 exec, exec, s[2:3]
                                        ; implicit-def: $vgpr26
.LBB18_453:                             ;   in Loop: Header=BB18_383 Depth=2
	s_andn2_saveexec_b64 s[2:3], s[8:9]
; %bb.454:                              ;   in Loop: Header=BB18_383 Depth=2
	v_or_b32_sdwa v1, v26, s91 dst_sel:DWORD dst_unused:UNUSED_PAD src0_sel:BYTE_3 src1_sel:DWORD
; %bb.455:                              ;   in Loop: Header=BB18_383 Depth=2
	s_or_b64 exec, exec, s[2:3]
	v_cvt_f32_f16_e32 v2, v3
	v_div_scale_f32 v11, s[2:3], s33, s33, v2
	v_div_scale_f32 v25, vcc, v2, s33, v2
	v_rcp_f32_e32 v26, v11
	v_fma_f32 v27, -v11, v26, 1.0
	v_fmac_f32_e32 v26, v27, v26
	v_mul_f32_e32 v27, v25, v26
	v_fma_f32 v28, -v11, v27, v25
	v_fmac_f32_e32 v27, v28, v26
	v_fma_f32 v11, -v11, v27, v25
	v_div_fmas_f32 v11, v11, v26, v27
                                        ; implicit-def: $vgpr25_vgpr26
	v_div_fixup_f32 v2, v11, s33, v2
	v_cvt_f16_f32_e32 v2, v2
	v_cvt_f32_f16_e32 v27, v2
	v_and_b32_e32 v11, 0x7f800000, v27
	v_cmp_ne_u64_e32 vcc, s[46:47], v[11:12]
	s_and_saveexec_b64 s[2:3], vcc
	s_xor_b64 s[8:9], exec, s[2:3]
	s_cbranch_execz .LBB18_471
; %bb.456:                              ;   in Loop: Header=BB18_383 Depth=2
	v_and_b32_e32 v11, 0x7fffffff, v27
	v_cmp_gt_u64_e32 vcc, s[48:49], v[11:12]
	v_and_b32_sdwa v2, v27, s87 dst_sel:DWORD dst_unused:UNUSED_PAD src0_sel:BYTE_3 src1_sel:DWORD
                                        ; implicit-def: $vgpr25_vgpr26
	s_and_saveexec_b64 s[2:3], vcc
	s_xor_b64 s[10:11], exec, s[2:3]
	s_cbranch_execz .LBB18_468
; %bb.457:                              ;   in Loop: Header=BB18_383 Depth=2
	v_mov_b32_e32 v25, 0
	v_cmp_ne_u32_e32 vcc, 0, v27
	v_mov_b32_e32 v26, 0
	s_and_saveexec_b64 s[12:13], vcc
	s_cbranch_execz .LBB18_467
; %bb.458:                              ;   in Loop: Header=BB18_383 Depth=2
	v_bfe_u32 v28, v27, 23, 8
	v_sub_u32_e32 v25, 0x79, v28
	v_cmp_gt_u32_e32 vcc, s88, v28
	v_cndmask_b32_e32 v25, 0, v25, vcc
	v_cmp_eq_u32_e32 vcc, 0, v28
	v_cndmask_b32_e32 v29, v25, v49, vcc
	v_and_b32_e32 v11, 0x7fffff, v27
	v_add_u32_e32 v25, 20, v29
	v_or_b32_e32 v27, 0x800000, v11
	v_lshlrev_b64 v[25:26], v25, -1
	v_cndmask_b32_e32 v11, v27, v11, vcc
	v_bfi_b32 v38, v25, 0, v11
	v_add_u32_e32 v25, 19, v29
	v_bfi_b32 v39, v26, 0, 0
	v_lshlrev_b64 v[40:41], v25, 1
	v_lshrrev_b64 v[25:26], v29, v[11:12]
	v_cmp_eq_u64_e64 s[2:3], v[38:39], v[40:41]
	v_mov_b32_e32 v27, v26
	v_mov_b32_e32 v26, v25
	s_and_saveexec_b64 s[14:15], s[2:3]
; %bb.459:                              ;   in Loop: Header=BB18_383 Depth=2
	v_bfe_u32 v11, v25, 20, 1
	v_add_co_u32_e64 v11, s[2:3], v25, v11
	v_add_co_u32_e64 v26, s[2:3], -1, v11
; %bb.460:                              ;   in Loop: Header=BB18_383 Depth=2
	s_or_b64 exec, exec, s[14:15]
	v_add_u32_e32 v11, 0xffffff81, v28
	v_cndmask_b32_e32 v11, v11, v50, vcc
	v_lshrrev_b32_e32 v27, 23, v25
	v_add3_u32 v28, v29, v11, v27
	v_add_u32_e32 v27, 6, v28
	v_and_b32_e32 v11, 0xfffff, v26
	v_add_u32_e32 v11, v11, v25
	v_cmp_ne_u32_e32 vcc, 0, v27
                                        ; implicit-def: $vgpr25_vgpr26
                                        ; implicit-def: $vgpr29
	s_and_saveexec_b64 s[2:3], vcc
	s_xor_b64 s[2:3], exec, s[2:3]
; %bb.461:                              ;   in Loop: Header=BB18_383 Depth=2
	v_cmp_lt_u64_e32 vcc, s[50:51], v[11:12]
	v_add_u32_e32 v25, 7, v28
	v_cndmask_b32_e32 v29, v27, v25, vcc
	v_cndmask_b32_e64 v25, 0, 1, vcc
	v_lshrrev_b64 v[25:26], v25, v[11:12]
; %bb.462:                              ;   in Loop: Header=BB18_383 Depth=2
	s_andn2_saveexec_b64 s[2:3], s[2:3]
; %bb.463:                              ;   in Loop: Header=BB18_383 Depth=2
	v_mov_b32_e32 v26, v12
	v_bfe_u32 v29, v11, 23, 1
	v_mov_b32_e32 v25, v11
; %bb.464:                              ;   in Loop: Header=BB18_383 Depth=2
	s_or_b64 exec, exec, s[2:3]
	v_lshrrev_b64 v[25:26], 20, v[25:26]
	v_cmp_gt_i32_e32 vcc, 16, v29
	v_cndmask_b32_e32 v28, 0, v26, vcc
	v_cndmask_b32_e32 v27, 7, v25, vcc
	v_cmp_ne_u64_e32 vcc, 0, v[27:28]
	v_cmp_ne_u32_e64 s[2:3], 0, v29
	v_mov_b32_e32 v26, v3
	s_or_b64 s[2:3], s[2:3], vcc
	v_mov_b32_e32 v25, v2
	s_and_saveexec_b64 s[14:15], s[2:3]
	s_xor_b64 s[2:3], exec, s[14:15]
; %bb.465:                              ;   in Loop: Header=BB18_383 Depth=2
	v_min_i32_e32 v11, 15, v29
	v_lshl_or_b32 v2, v11, 3, v2
	v_and_or_b32 v25, v27, 7, v2
; %bb.466:                              ;   in Loop: Header=BB18_383 Depth=2
	s_andn2_saveexec_b64 s[2:3], s[2:3]
	s_or_b64 exec, exec, s[2:3]
.LBB18_467:                             ;   in Loop: Header=BB18_383 Depth=2
	s_or_b64 exec, exec, s[12:13]
                                        ; implicit-def: $vgpr2
.LBB18_468:                             ;   in Loop: Header=BB18_383 Depth=2
	s_andn2_saveexec_b64 s[2:3], s[10:11]
; %bb.469:                              ;   in Loop: Header=BB18_383 Depth=2
	v_or_b32_e32 v25, 0x7e, v2
; %bb.470:                              ;   in Loop: Header=BB18_383 Depth=2
	s_or_b64 exec, exec, s[2:3]
                                        ; implicit-def: $vgpr27
.LBB18_471:                             ;   in Loop: Header=BB18_383 Depth=2
	s_andn2_saveexec_b64 s[2:3], s[8:9]
; %bb.472:                              ;   in Loop: Header=BB18_383 Depth=2
	v_or_b32_sdwa v25, v27, s91 dst_sel:DWORD dst_unused:UNUSED_PAD src0_sel:BYTE_3 src1_sel:DWORD
; %bb.473:                              ;   in Loop: Header=BB18_383 Depth=2
	s_or_b64 exec, exec, s[2:3]
	v_cvt_f32_f16_sdwa v2, v3 dst_sel:DWORD dst_unused:UNUSED_PAD src0_sel:WORD_1
	v_div_scale_f32 v3, s[2:3], s33, s33, v2
	v_div_scale_f32 v11, vcc, v2, s33, v2
	v_rcp_f32_e32 v26, v3
	v_fma_f32 v27, -v3, v26, 1.0
	v_fmac_f32_e32 v26, v27, v26
	v_mul_f32_e32 v27, v11, v26
	v_fma_f32 v28, -v3, v27, v11
	v_fmac_f32_e32 v27, v28, v26
	v_fma_f32 v3, -v3, v27, v11
	v_div_fmas_f32 v3, v3, v26, v27
	v_div_fixup_f32 v2, v3, s33, v2
	v_cvt_f16_f32_e32 v2, v2
	v_cvt_f32_f16_e32 v27, v2
                                        ; implicit-def: $vgpr2_vgpr3
	v_and_b32_e32 v11, 0x7f800000, v27
	v_cmp_ne_u64_e32 vcc, s[46:47], v[11:12]
	s_and_saveexec_b64 s[2:3], vcc
	s_xor_b64 s[8:9], exec, s[2:3]
	s_cbranch_execz .LBB18_489
; %bb.474:                              ;   in Loop: Header=BB18_383 Depth=2
	v_and_b32_e32 v11, 0x7fffffff, v27
	v_cmp_gt_u64_e32 vcc, s[48:49], v[11:12]
	v_and_b32_sdwa v26, v27, s87 dst_sel:DWORD dst_unused:UNUSED_PAD src0_sel:BYTE_3 src1_sel:DWORD
                                        ; implicit-def: $vgpr2_vgpr3
	s_and_saveexec_b64 s[2:3], vcc
	s_xor_b64 s[10:11], exec, s[2:3]
	s_cbranch_execz .LBB18_486
; %bb.475:                              ;   in Loop: Header=BB18_383 Depth=2
	v_mov_b32_e32 v2, 0
	v_cmp_ne_u32_e32 vcc, 0, v27
	v_mov_b32_e32 v3, 0
	s_and_saveexec_b64 s[12:13], vcc
	s_cbranch_execz .LBB18_485
; %bb.476:                              ;   in Loop: Header=BB18_383 Depth=2
	v_bfe_u32 v29, v27, 23, 8
	v_sub_u32_e32 v2, 0x79, v29
	v_cmp_gt_u32_e32 vcc, s88, v29
	v_cndmask_b32_e32 v2, 0, v2, vcc
	v_cmp_eq_u32_e32 vcc, 0, v29
	v_cndmask_b32_e32 v30, v2, v49, vcc
	v_and_b32_e32 v11, 0x7fffff, v27
	v_add_u32_e32 v2, 20, v30
	v_or_b32_e32 v27, 0x800000, v11
	v_lshlrev_b64 v[2:3], v2, -1
	v_cndmask_b32_e32 v11, v27, v11, vcc
	v_bfi_b32 v27, v2, 0, v11
	v_add_u32_e32 v2, 19, v30
	v_bfi_b32 v28, v3, 0, 0
	v_lshlrev_b64 v[38:39], v2, 1
	v_lshrrev_b64 v[2:3], v30, v[11:12]
	v_cmp_eq_u64_e64 s[2:3], v[27:28], v[38:39]
	v_mov_b32_e32 v28, v3
	v_mov_b32_e32 v27, v2
	s_and_saveexec_b64 s[14:15], s[2:3]
; %bb.477:                              ;   in Loop: Header=BB18_383 Depth=2
	v_bfe_u32 v3, v2, 20, 1
	v_add_co_u32_e64 v3, s[2:3], v2, v3
	v_add_co_u32_e64 v27, s[2:3], -1, v3
; %bb.478:                              ;   in Loop: Header=BB18_383 Depth=2
	s_or_b64 exec, exec, s[14:15]
	v_add_u32_e32 v3, 0xffffff81, v29
	v_cndmask_b32_e32 v3, v3, v50, vcc
	v_lshrrev_b32_e32 v11, 23, v2
	v_add3_u32 v30, v30, v3, v11
	v_add_u32_e32 v28, 6, v30
	v_and_b32_e32 v3, 0xfffff, v27
	v_add_u32_e32 v11, v3, v2
	v_cmp_ne_u32_e32 vcc, 0, v28
                                        ; implicit-def: $vgpr2_vgpr3
                                        ; implicit-def: $vgpr29
	s_and_saveexec_b64 s[2:3], vcc
	s_xor_b64 s[2:3], exec, s[2:3]
; %bb.479:                              ;   in Loop: Header=BB18_383 Depth=2
	v_cmp_lt_u64_e32 vcc, s[50:51], v[11:12]
	v_add_u32_e32 v2, 7, v30
	v_cndmask_b32_e32 v29, v28, v2, vcc
	v_cndmask_b32_e64 v2, 0, 1, vcc
	v_lshrrev_b64 v[2:3], v2, v[11:12]
; %bb.480:                              ;   in Loop: Header=BB18_383 Depth=2
	s_andn2_saveexec_b64 s[2:3], s[2:3]
; %bb.481:                              ;   in Loop: Header=BB18_383 Depth=2
	v_mov_b32_e32 v2, v11
	v_bfe_u32 v29, v11, 23, 1
	v_mov_b32_e32 v3, v12
; %bb.482:                              ;   in Loop: Header=BB18_383 Depth=2
	s_or_b64 exec, exec, s[2:3]
	v_lshrrev_b64 v[2:3], 20, v[2:3]
	v_cmp_gt_i32_e32 vcc, 16, v29
	v_cndmask_b32_e32 v28, 0, v3, vcc
	v_cndmask_b32_e32 v27, 7, v2, vcc
	v_cmp_ne_u64_e32 vcc, 0, v[27:28]
	v_cmp_ne_u32_e64 s[2:3], 0, v29
	s_or_b64 s[2:3], s[2:3], vcc
	v_mov_b32_e32 v2, v26
	v_mov_b32_e32 v3, v27
	s_and_saveexec_b64 s[14:15], s[2:3]
	s_xor_b64 s[2:3], exec, s[14:15]
; %bb.483:                              ;   in Loop: Header=BB18_383 Depth=2
	v_min_i32_e32 v2, 15, v29
	v_lshl_or_b32 v2, v2, 3, v26
	v_and_or_b32 v2, v27, 7, v2
; %bb.484:                              ;   in Loop: Header=BB18_383 Depth=2
	s_andn2_saveexec_b64 s[2:3], s[2:3]
	s_or_b64 exec, exec, s[2:3]
.LBB18_485:                             ;   in Loop: Header=BB18_383 Depth=2
	s_or_b64 exec, exec, s[12:13]
                                        ; implicit-def: $vgpr26
.LBB18_486:                             ;   in Loop: Header=BB18_383 Depth=2
	s_andn2_saveexec_b64 s[2:3], s[10:11]
; %bb.487:                              ;   in Loop: Header=BB18_383 Depth=2
	v_or_b32_e32 v2, 0x7e, v26
; %bb.488:                              ;   in Loop: Header=BB18_383 Depth=2
	s_or_b64 exec, exec, s[2:3]
                                        ; implicit-def: $vgpr27
.LBB18_489:                             ;   in Loop: Header=BB18_383 Depth=2
	s_andn2_saveexec_b64 s[2:3], s[8:9]
; %bb.490:                              ;   in Loop: Header=BB18_383 Depth=2
	v_or_b32_sdwa v2, v27, s91 dst_sel:DWORD dst_unused:UNUSED_PAD src0_sel:BYTE_3 src1_sel:DWORD
; %bb.491:                              ;   in Loop: Header=BB18_383 Depth=2
	s_or_b64 exec, exec, s[2:3]
	v_cvt_f32_f16_e32 v3, v4
	v_div_scale_f32 v11, s[2:3], s33, s33, v3
	v_div_scale_f32 v26, vcc, v3, s33, v3
	v_rcp_f32_e32 v27, v11
	v_fma_f32 v28, -v11, v27, 1.0
	v_fmac_f32_e32 v27, v28, v27
	v_mul_f32_e32 v28, v26, v27
	v_fma_f32 v29, -v11, v28, v26
	v_fmac_f32_e32 v28, v29, v27
	v_fma_f32 v11, -v11, v28, v26
	v_div_fmas_f32 v11, v11, v27, v28
                                        ; implicit-def: $vgpr26_vgpr27
	v_div_fixup_f32 v3, v11, s33, v3
	v_cvt_f16_f32_e32 v3, v3
	v_cvt_f32_f16_e32 v28, v3
	v_and_b32_e32 v11, 0x7f800000, v28
	v_cmp_ne_u64_e32 vcc, s[46:47], v[11:12]
	s_and_saveexec_b64 s[2:3], vcc
	s_xor_b64 s[8:9], exec, s[2:3]
	s_cbranch_execz .LBB18_507
; %bb.492:                              ;   in Loop: Header=BB18_383 Depth=2
	v_and_b32_e32 v11, 0x7fffffff, v28
	v_cmp_gt_u64_e32 vcc, s[48:49], v[11:12]
	v_and_b32_sdwa v3, v28, s87 dst_sel:DWORD dst_unused:UNUSED_PAD src0_sel:BYTE_3 src1_sel:DWORD
                                        ; implicit-def: $vgpr26_vgpr27
	s_and_saveexec_b64 s[2:3], vcc
	s_xor_b64 s[10:11], exec, s[2:3]
	s_cbranch_execz .LBB18_504
; %bb.493:                              ;   in Loop: Header=BB18_383 Depth=2
	v_mov_b32_e32 v26, 0
	v_cmp_ne_u32_e32 vcc, 0, v28
	v_mov_b32_e32 v27, 0
	s_and_saveexec_b64 s[12:13], vcc
	s_cbranch_execz .LBB18_503
; %bb.494:                              ;   in Loop: Header=BB18_383 Depth=2
	v_bfe_u32 v29, v28, 23, 8
	v_sub_u32_e32 v26, 0x79, v29
	v_cmp_gt_u32_e32 vcc, s88, v29
	v_cndmask_b32_e32 v26, 0, v26, vcc
	v_cmp_eq_u32_e32 vcc, 0, v29
	v_cndmask_b32_e32 v30, v26, v49, vcc
	v_and_b32_e32 v11, 0x7fffff, v28
	v_add_u32_e32 v26, 20, v30
	v_or_b32_e32 v28, 0x800000, v11
	v_lshlrev_b64 v[26:27], v26, -1
	v_cndmask_b32_e32 v11, v28, v11, vcc
	v_bfi_b32 v38, v26, 0, v11
	v_add_u32_e32 v26, 19, v30
	v_bfi_b32 v39, v27, 0, 0
	v_lshlrev_b64 v[40:41], v26, 1
	v_lshrrev_b64 v[26:27], v30, v[11:12]
	v_cmp_eq_u64_e64 s[2:3], v[38:39], v[40:41]
	v_mov_b32_e32 v28, v27
	v_mov_b32_e32 v27, v26
	s_and_saveexec_b64 s[14:15], s[2:3]
; %bb.495:                              ;   in Loop: Header=BB18_383 Depth=2
	v_bfe_u32 v11, v26, 20, 1
	v_add_co_u32_e64 v11, s[2:3], v26, v11
	v_add_co_u32_e64 v27, s[2:3], -1, v11
; %bb.496:                              ;   in Loop: Header=BB18_383 Depth=2
	s_or_b64 exec, exec, s[14:15]
	v_add_u32_e32 v11, 0xffffff81, v29
	v_cndmask_b32_e32 v11, v11, v50, vcc
	v_lshrrev_b32_e32 v28, 23, v26
	v_add3_u32 v29, v30, v11, v28
	v_add_u32_e32 v28, 6, v29
	v_and_b32_e32 v11, 0xfffff, v27
	v_add_u32_e32 v11, v11, v26
	v_cmp_ne_u32_e32 vcc, 0, v28
                                        ; implicit-def: $vgpr26_vgpr27
                                        ; implicit-def: $vgpr30
	s_and_saveexec_b64 s[2:3], vcc
	s_xor_b64 s[2:3], exec, s[2:3]
; %bb.497:                              ;   in Loop: Header=BB18_383 Depth=2
	v_cmp_lt_u64_e32 vcc, s[50:51], v[11:12]
	v_add_u32_e32 v26, 7, v29
	v_cndmask_b32_e32 v30, v28, v26, vcc
	v_cndmask_b32_e64 v26, 0, 1, vcc
	v_lshrrev_b64 v[26:27], v26, v[11:12]
; %bb.498:                              ;   in Loop: Header=BB18_383 Depth=2
	s_andn2_saveexec_b64 s[2:3], s[2:3]
; %bb.499:                              ;   in Loop: Header=BB18_383 Depth=2
	v_mov_b32_e32 v27, v12
	v_bfe_u32 v30, v11, 23, 1
	v_mov_b32_e32 v26, v11
; %bb.500:                              ;   in Loop: Header=BB18_383 Depth=2
	s_or_b64 exec, exec, s[2:3]
	v_lshrrev_b64 v[26:27], 20, v[26:27]
	v_cmp_gt_i32_e32 vcc, 16, v30
	v_cndmask_b32_e32 v29, 0, v27, vcc
	v_cndmask_b32_e32 v28, 7, v26, vcc
	v_cmp_ne_u64_e32 vcc, 0, v[28:29]
	v_cmp_ne_u32_e64 s[2:3], 0, v30
	v_mov_b32_e32 v27, v4
	s_or_b64 s[2:3], s[2:3], vcc
	v_mov_b32_e32 v26, v3
	s_and_saveexec_b64 s[14:15], s[2:3]
	s_xor_b64 s[2:3], exec, s[14:15]
; %bb.501:                              ;   in Loop: Header=BB18_383 Depth=2
	v_min_i32_e32 v11, 15, v30
	v_lshl_or_b32 v3, v11, 3, v3
	v_and_or_b32 v26, v28, 7, v3
; %bb.502:                              ;   in Loop: Header=BB18_383 Depth=2
	s_andn2_saveexec_b64 s[2:3], s[2:3]
	s_or_b64 exec, exec, s[2:3]
.LBB18_503:                             ;   in Loop: Header=BB18_383 Depth=2
	s_or_b64 exec, exec, s[12:13]
                                        ; implicit-def: $vgpr3
.LBB18_504:                             ;   in Loop: Header=BB18_383 Depth=2
	s_andn2_saveexec_b64 s[2:3], s[10:11]
; %bb.505:                              ;   in Loop: Header=BB18_383 Depth=2
	v_or_b32_e32 v26, 0x7e, v3
; %bb.506:                              ;   in Loop: Header=BB18_383 Depth=2
	s_or_b64 exec, exec, s[2:3]
                                        ; implicit-def: $vgpr28
.LBB18_507:                             ;   in Loop: Header=BB18_383 Depth=2
	s_andn2_saveexec_b64 s[2:3], s[8:9]
; %bb.508:                              ;   in Loop: Header=BB18_383 Depth=2
	v_or_b32_sdwa v26, v28, s91 dst_sel:DWORD dst_unused:UNUSED_PAD src0_sel:BYTE_3 src1_sel:DWORD
; %bb.509:                              ;   in Loop: Header=BB18_383 Depth=2
	s_or_b64 exec, exec, s[2:3]
	v_cvt_f32_f16_sdwa v3, v4 dst_sel:DWORD dst_unused:UNUSED_PAD src0_sel:WORD_1
	v_div_scale_f32 v4, s[2:3], s33, s33, v3
	v_div_scale_f32 v11, vcc, v3, s33, v3
	v_rcp_f32_e32 v27, v4
	v_fma_f32 v28, -v4, v27, 1.0
	v_fmac_f32_e32 v27, v28, v27
	v_mul_f32_e32 v28, v11, v27
	v_fma_f32 v29, -v4, v28, v11
	v_fmac_f32_e32 v28, v29, v27
	v_fma_f32 v4, -v4, v28, v11
	v_div_fmas_f32 v4, v4, v27, v28
                                        ; implicit-def: $vgpr27_vgpr28
	v_div_fixup_f32 v3, v4, s33, v3
	v_cvt_f16_f32_e32 v3, v3
	v_cvt_f32_f16_e32 v4, v3
	v_and_b32_e32 v11, 0x7f800000, v4
	v_cmp_ne_u64_e32 vcc, s[46:47], v[11:12]
	s_and_saveexec_b64 s[2:3], vcc
	s_xor_b64 s[8:9], exec, s[2:3]
	s_cbranch_execz .LBB18_525
; %bb.510:                              ;   in Loop: Header=BB18_383 Depth=2
	v_and_b32_e32 v11, 0x7fffffff, v4
	v_cmp_gt_u64_e32 vcc, s[48:49], v[11:12]
	v_and_b32_sdwa v3, v4, s87 dst_sel:DWORD dst_unused:UNUSED_PAD src0_sel:BYTE_3 src1_sel:DWORD
                                        ; implicit-def: $vgpr27_vgpr28
	s_and_saveexec_b64 s[2:3], vcc
	s_xor_b64 s[10:11], exec, s[2:3]
	s_cbranch_execz .LBB18_522
; %bb.511:                              ;   in Loop: Header=BB18_383 Depth=2
	v_mov_b32_e32 v27, 0
	v_cmp_ne_u32_e32 vcc, 0, v4
	v_mov_b32_e32 v28, 0
	s_and_saveexec_b64 s[12:13], vcc
	s_cbranch_execz .LBB18_521
; %bb.512:                              ;   in Loop: Header=BB18_383 Depth=2
	v_and_b32_e32 v11, 0x7fffff, v4
	v_bfe_u32 v4, v4, 23, 8
	v_sub_u32_e32 v27, 0x79, v4
	v_cmp_gt_u32_e32 vcc, s88, v4
	v_cndmask_b32_e32 v27, 0, v27, vcc
	v_cmp_eq_u32_e32 vcc, 0, v4
	v_cndmask_b32_e32 v30, v27, v49, vcc
	v_add_u32_e32 v27, 20, v30
	v_or_b32_e32 v29, 0x800000, v11
	v_lshlrev_b64 v[27:28], v27, -1
	v_cndmask_b32_e32 v11, v29, v11, vcc
	v_bfi_b32 v38, v27, 0, v11
	v_add_u32_e32 v27, 19, v30
	v_bfi_b32 v39, v28, 0, 0
	v_lshlrev_b64 v[40:41], v27, 1
	v_lshrrev_b64 v[27:28], v30, v[11:12]
	v_cmp_eq_u64_e64 s[2:3], v[38:39], v[40:41]
	v_mov_b32_e32 v29, v28
	v_mov_b32_e32 v28, v27
	s_and_saveexec_b64 s[14:15], s[2:3]
; %bb.513:                              ;   in Loop: Header=BB18_383 Depth=2
	v_bfe_u32 v11, v27, 20, 1
	v_add_co_u32_e64 v11, s[2:3], v27, v11
	v_add_co_u32_e64 v28, s[2:3], -1, v11
; %bb.514:                              ;   in Loop: Header=BB18_383 Depth=2
	s_or_b64 exec, exec, s[14:15]
	v_add_u32_e32 v4, 0xffffff81, v4
	v_cndmask_b32_e32 v4, v4, v50, vcc
	v_lshrrev_b32_e32 v11, 23, v27
	v_add3_u32 v30, v30, v4, v11
	v_add_u32_e32 v29, 6, v30
	v_and_b32_e32 v4, 0xfffff, v28
	v_add_u32_e32 v11, v4, v27
	v_cmp_ne_u32_e32 vcc, 0, v29
                                        ; implicit-def: $vgpr27_vgpr28
                                        ; implicit-def: $vgpr4
	s_and_saveexec_b64 s[2:3], vcc
	s_xor_b64 s[2:3], exec, s[2:3]
; %bb.515:                              ;   in Loop: Header=BB18_383 Depth=2
	v_cmp_lt_u64_e32 vcc, s[50:51], v[11:12]
	v_add_u32_e32 v4, 7, v30
	v_cndmask_b32_e64 v27, 0, 1, vcc
	v_lshrrev_b64 v[27:28], v27, v[11:12]
	v_cndmask_b32_e32 v4, v29, v4, vcc
; %bb.516:                              ;   in Loop: Header=BB18_383 Depth=2
	s_andn2_saveexec_b64 s[2:3], s[2:3]
; %bb.517:                              ;   in Loop: Header=BB18_383 Depth=2
	v_mov_b32_e32 v28, v12
	v_bfe_u32 v4, v11, 23, 1
	v_mov_b32_e32 v27, v11
; %bb.518:                              ;   in Loop: Header=BB18_383 Depth=2
	s_or_b64 exec, exec, s[2:3]
	v_lshrrev_b64 v[27:28], 20, v[27:28]
	v_cmp_gt_i32_e32 vcc, 16, v4
	v_cndmask_b32_e32 v30, 0, v28, vcc
	v_cndmask_b32_e32 v29, 7, v27, vcc
	v_cmp_ne_u64_e32 vcc, 0, v[29:30]
	v_cmp_ne_u32_e64 s[2:3], 0, v4
	v_mov_b32_e32 v28, v4
	s_or_b64 s[2:3], s[2:3], vcc
	v_mov_b32_e32 v27, v3
	s_and_saveexec_b64 s[14:15], s[2:3]
	s_xor_b64 s[2:3], exec, s[14:15]
; %bb.519:                              ;   in Loop: Header=BB18_383 Depth=2
	v_min_i32_e32 v4, 15, v4
	v_lshl_or_b32 v3, v4, 3, v3
	v_and_or_b32 v27, v29, 7, v3
; %bb.520:                              ;   in Loop: Header=BB18_383 Depth=2
	s_andn2_saveexec_b64 s[2:3], s[2:3]
	s_or_b64 exec, exec, s[2:3]
.LBB18_521:                             ;   in Loop: Header=BB18_383 Depth=2
	s_or_b64 exec, exec, s[12:13]
                                        ; implicit-def: $vgpr3
.LBB18_522:                             ;   in Loop: Header=BB18_383 Depth=2
	s_andn2_saveexec_b64 s[2:3], s[10:11]
; %bb.523:                              ;   in Loop: Header=BB18_383 Depth=2
	v_or_b32_e32 v27, 0x7e, v3
; %bb.524:                              ;   in Loop: Header=BB18_383 Depth=2
	s_or_b64 exec, exec, s[2:3]
                                        ; implicit-def: $vgpr4
.LBB18_525:                             ;   in Loop: Header=BB18_383 Depth=2
	s_andn2_saveexec_b64 s[2:3], s[8:9]
	s_cbranch_execz .LBB18_382
; %bb.526:                              ;   in Loop: Header=BB18_383 Depth=2
	v_or_b32_sdwa v27, v4, s91 dst_sel:DWORD dst_unused:UNUSED_PAD src0_sel:BYTE_3 src1_sel:DWORD
	s_branch .LBB18_382
.LBB18_527:                             ;   in Loop: Header=BB18_9 Depth=1
	s_or_b64 exec, exec, s[4:5]
	v_lshlrev_b32_e32 v2, 3, v51
	v_add_u32_e32 v1, v2, v37
	v_cmp_lt_i32_e32 vcc, v1, v31
	s_and_saveexec_b64 s[56:57], vcc
	s_cbranch_execz .LBB18_555
; %bb.528:                              ;   in Loop: Header=BB18_9 Depth=1
	v_add_u32_e32 v3, v59, v2
	v_max_i32_e32 v3, v3, v31
	v_add_u32_e32 v3, v3, v62
	v_sub_u32_e32 v2, v3, v2
	v_cmp_lt_u32_e32 vcc, 31, v2
	s_mov_b64 s[2:3], -1
	s_and_saveexec_b64 s[58:59], vcc
	s_cbranch_execz .LBB18_532
; %bb.529:                              ;   in Loop: Header=BB18_9 Depth=1
	v_lshrrev_b32_e32 v2, 5, v2
	v_add_co_u32_e32 v10, vcc, v32, v17
	v_add_u32_e32 v4, 1, v2
	v_addc_co_u32_e32 v26, vcc, v33, v18, vcc
	v_add_u32_e32 v2, 32, v1
	v_add_co_u32_e32 v27, vcc, v34, v15
	v_and_b32_e32 v25, 0xffffffe, v4
	v_mov_b32_e32 v3, v2
	v_addc_co_u32_e32 v28, vcc, v35, v16, vcc
	s_mov_b64 s[60:61], 0
	v_mov_b32_e32 v29, v25
	v_mov_b32_e32 v2, v1
.LBB18_530:                             ;   Parent Loop BB18_9 Depth=1
                                        ; =>  This Inner Loop Header: Depth=2
	v_ashrrev_i32_e32 v33, 31, v2
	v_add_co_u32_e32 v19, vcc, v27, v2
	v_mov_b32_e32 v32, v2
	v_addc_co_u32_e32 v20, vcc, v28, v33, vcc
	v_ashrrev_i32_e32 v24, 31, v3
	v_add_co_u32_e32 v21, vcc, v27, v3
	v_lshlrev_b64 v[32:33], 1, v[32:33]
	v_mov_b32_e32 v23, v3
	v_addc_co_u32_e32 v22, vcc, v28, v24, vcc
	v_add_co_u32_e32 v32, vcc, v10, v32
	v_lshlrev_b64 v[23:24], 1, v[23:24]
	v_addc_co_u32_e32 v33, vcc, v26, v33, vcc
	v_add_co_u32_e32 v23, vcc, v10, v23
	v_addc_co_u32_e32 v24, vcc, v26, v24, vcc
	global_load_ushort v11, v[32:33], off
	s_nop 0
	global_load_ushort v23, v[23:24], off
	v_add_u32_e32 v29, -2, v29
	v_add_u32_e32 v3, 64, v3
	v_add_u32_e32 v2, 64, v2
	s_waitcnt vmcnt(1)
	v_cvt_f32_f16_e32 v11, v11
	s_waitcnt vmcnt(0)
	v_cvt_f32_f16_e32 v23, v23
	v_div_scale_f32 v24, s[2:3], s79, s79, v23
	v_rcp_f32_e32 v30, v24
	v_fma_f32 v32, -v24, v30, 1.0
	v_fmac_f32_e32 v30, v32, v30
	v_div_scale_f32 v32, vcc, v23, s79, v23
	v_mul_f32_e32 v33, v32, v30
	v_fma_f32 v34, -v24, v33, v32
	v_fmac_f32_e32 v33, v34, v30
	v_fma_f32 v24, -v24, v33, v32
	v_div_fmas_f32 v24, v24, v30, v33
	v_div_fixup_f32 v23, v24, s79, v23
	v_div_scale_f32 v24, s[2:3], s33, s33, v11
	v_cvt_f16_f32_e32 v23, v23
	v_rcp_f32_e32 v30, v24
	v_fma_f32 v32, -v24, v30, 1.0
	v_fmac_f32_e32 v30, v32, v30
	v_div_scale_f32 v32, vcc, v11, s33, v11
	v_mul_f32_e32 v33, v32, v30
	v_fma_f32 v34, -v24, v33, v32
	v_fmac_f32_e32 v33, v34, v30
	v_fma_f32 v24, -v24, v33, v32
	v_div_fmas_f32 v24, v24, v30, v33
	v_cvt_f32_f16_e32 v30, v23
	v_and_b32_e32 v38, 0x7f800000, v30
	v_lshrrev_b32_e32 v23, 23, v30
	v_cmp_ne_u32_e32 vcc, s86, v38
	v_cmp_eq_u32_sdwa s[16:17], v23, v12 src0_sel:BYTE_0 src1_sel:DWORD
	v_cmp_lt_u32_sdwa s[22:23], v23, s88 src0_sel:BYTE_0 src1_sel:DWORD
	v_cmp_ne_u32_e64 s[14:15], 0, v30
	v_and_b32_sdwa v33, v30, s87 dst_sel:DWORD dst_unused:UNUSED_PAD src0_sel:BYTE_3 src1_sel:DWORD
	v_cmp_eq_u32_e64 s[8:9], 0, v30
	v_div_fixup_f32 v11, v24, s33, v11
	v_cvt_f16_f32_e32 v11, v11
	v_cvt_f32_f16_e32 v32, v11
	v_and_b32_e32 v11, 0x7fffff, v30
	v_or_b32_e32 v41, 0x800000, v11
	v_and_b32_e32 v39, 0x7f800000, v32
	v_lshrrev_b32_e32 v35, 23, v32
	v_cmp_ne_u32_e64 s[2:3], s86, v39
	v_and_b32_e32 v39, 0x7fffffff, v30
	v_and_b32_e32 v38, 0x7fffffff, v32
	v_cmp_gt_u32_e64 s[4:5], s94, v39
	v_cmp_eq_u32_sdwa s[18:19], v35, v12 src0_sel:BYTE_0 src1_sel:DWORD
	v_add_u32_sdwa v39, v35, s90 dst_sel:DWORD dst_unused:UNUSED_PAD src0_sel:BYTE_0 src1_sel:DWORD
	v_cmp_lt_u32_sdwa s[20:21], v35, s88 src0_sel:BYTE_0 src1_sel:DWORD
	v_sub_u32_sdwa v35, s89, v35 dst_sel:DWORD dst_unused:UNUSED_PAD src0_sel:DWORD src1_sel:BYTE_0
	v_cmp_gt_u32_e64 s[6:7], s94, v38
	v_add_u32_sdwa v38, v23, s90 dst_sel:DWORD dst_unused:UNUSED_PAD src0_sel:BYTE_0 src1_sel:DWORD
	v_sub_u32_sdwa v23, s89, v23 dst_sel:DWORD dst_unused:UNUSED_PAD src0_sel:DWORD src1_sel:BYTE_0
	v_cndmask_b32_e64 v40, 0, v35, s[20:21]
	v_cndmask_b32_e64 v23, 0, v23, s[22:23]
	;; [unrolled: 1-line block ×3, first 2 shown]
	v_and_b32_e32 v24, 0x7fffff, v32
	v_cndmask_b32_e64 v51, v38, v50, s[16:17]
	v_cndmask_b32_e64 v53, v23, v49, s[16:17]
	v_add_u32_e32 v38, 20, v52
	v_or_b32_e32 v54, 0x800000, v24
	v_cndmask_b32_e64 v35, v39, v50, s[18:19]
	v_add_u32_e32 v40, 20, v53
	v_lshlrev_b64 v[38:39], v38, -1
	v_add_u32_e32 v56, 19, v52
	v_cndmask_b32_e64 v23, v41, v11, s[16:17]
	v_cndmask_b32_e64 v11, v54, v24, s[18:19]
	v_lshlrev_b64 v[40:41], v40, -1
	v_add_u32_e32 v54, 19, v53
	v_lshlrev_b64 v[56:57], v56, 1
	v_mov_b32_e32 v24, v12
	v_bfi_b32 v39, v39, 0, 0
	v_bfi_b32 v38, v38, 0, v11
	v_lshlrev_b64 v[54:55], v54, 1
	v_bfi_b32 v41, v41, 0, 0
	v_bfi_b32 v40, v40, 0, v23
	v_cmp_ne_u64_e64 s[16:17], v[38:39], v[56:57]
	v_lshrrev_b64 v[38:39], v52, v[11:12]
	v_lshrrev_b64 v[23:24], v53, v[23:24]
	v_cmp_ne_u64_e64 s[18:19], v[40:41], v[54:55]
	v_cmp_ne_u32_e64 s[12:13], 0, v32
	v_lshrrev_b32_e32 v11, 23, v38
	v_lshrrev_b32_e32 v24, 23, v23
	v_add3_u32 v51, v53, v51, v24
	v_add3_u32 v52, v52, v35, v11
	v_bfe_u32 v11, v23, 20, 1
	v_bfe_u32 v24, v38, 20, 1
	s_and_b64 s[18:19], s[14:15], s[18:19]
	s_and_b64 s[16:17], s[12:13], s[16:17]
	v_add3_u32 v24, v38, v24, -1
	v_add3_u32 v11, v23, v11, -1
	s_and_b64 s[16:17], s[16:17], s[6:7]
	s_and_b64 s[18:19], s[18:19], s[4:5]
	v_cndmask_b32_e64 v11, v11, v23, s[18:19]
	v_cndmask_b32_e64 v24, v24, v38, s[16:17]
	v_and_b32_e32 v11, 0xfffff, v11
	v_and_b32_e32 v24, 0xfffff, v24
	v_add_u32_e32 v23, v11, v23
	v_add_u32_e32 v11, v24, v38
	v_mov_b32_e32 v24, v12
	v_cmp_lt_u64_e64 s[20:21], s[50:51], v[11:12]
	v_add_u32_e32 v35, 6, v52
	v_cmp_lt_u64_e64 s[22:23], s[50:51], v[23:24]
	v_add_u32_e32 v38, 7, v52
	v_add_u32_e32 v53, 6, v51
	v_cmp_ne_u32_e64 s[18:19], 0, v35
	v_add_u32_e32 v39, 7, v51
	v_cndmask_b32_e64 v35, v35, v38, s[20:21]
	v_lshrrev_b32_e32 v38, 23, v23
	v_lshrrev_b32_e32 v40, 23, v11
	v_cmp_ne_u32_e64 s[16:17], 0, v53
	v_cndmask_b32_e64 v39, v53, v39, s[22:23]
	v_and_b32_e32 v38, 1, v38
	v_and_b32_e32 v40, 1, v40
	v_cndmask_b32_e64 v35, v40, v35, s[18:19]
	v_cndmask_b32_e64 v40, v38, v39, s[16:17]
	s_and_b64 s[16:17], s[16:17], s[22:23]
	s_and_b64 s[18:19], s[18:19], s[20:21]
	v_cndmask_b32_e64 v39, 0, 1, s[16:17]
	v_cndmask_b32_e64 v38, 0, 1, s[18:19]
	v_lshrrev_b64 v[23:24], v39, v[23:24]
	v_lshrrev_b64 v[38:39], v38, v[11:12]
	v_lshrrev_b32_e32 v11, 20, v23
	v_cmp_gt_i32_e64 s[16:17], 16, v40
	v_lshrrev_b32_e32 v24, 20, v38
	v_cndmask_b32_e64 v11, 7, v11, s[16:17]
	v_cmp_gt_i32_e64 s[16:17], 16, v35
	v_cndmask_b32_e64 v23, 7, v24, s[16:17]
	v_mov_b32_e32 v24, v12
	v_cmp_eq_u32_e64 s[18:19], 0, v35
	v_cmp_eq_u64_e64 s[20:21], 0, v[23:24]
	v_min_i32_e32 v24, 15, v35
	v_min_i32_e32 v35, 15, v40
	s_and_b64 s[36:37], s[2:3], s[6:7]
	s_and_b64 s[82:83], vcc, s[4:5]
	v_cmp_eq_u32_e64 s[16:17], 0, v40
	v_cmp_eq_u64_e64 s[22:23], 0, v[11:12]
	v_lshlrev_b32_e32 v35, 3, v35
	s_and_b64 s[14:15], s[82:83], s[14:15]
	s_and_b64 s[12:13], s[36:37], s[12:13]
	v_and_b32_sdwa v34, v32, s87 dst_sel:DWORD dst_unused:UNUSED_PAD src0_sel:BYTE_3 src1_sel:DWORD
	v_lshlrev_b32_e32 v24, 3, v24
	v_or_b32_e32 v35, v35, v33
	s_and_b64 s[18:19], s[12:13], s[18:19]
	s_and_b64 s[12:13], s[14:15], s[16:17]
	v_or_b32_e32 v24, v24, v34
	v_and_or_b32 v11, v11, 7, v35
	s_and_b64 s[12:13], s[12:13], s[22:23]
	v_cmp_eq_u32_e64 s[10:11], 0, v32
	v_and_or_b32 v23, v23, 7, v24
	s_and_b64 s[14:15], s[18:19], s[20:21]
	s_and_b64 s[8:9], s[82:83], s[8:9]
	v_cndmask_b32_e64 v11, v11, v33, s[12:13]
	v_or_b32_e32 v24, 0x7e, v33
	s_and_b64 s[10:11], s[36:37], s[10:11]
	v_cndmask_b32_e64 v23, v23, v34, s[14:15]
	v_cndmask_b32_e64 v11, v11, 0, s[8:9]
	v_or_b32_e32 v35, 0x7e, v34
	v_or_b32_sdwa v30, v30, s91 dst_sel:DWORD dst_unused:UNUSED_PAD src0_sel:BYTE_3 src1_sel:DWORD
	v_cndmask_b32_e64 v23, v23, 0, s[10:11]
	v_cndmask_b32_e64 v11, v24, v11, s[4:5]
	v_or_b32_sdwa v32, v32, s91 dst_sel:DWORD dst_unused:UNUSED_PAD src0_sel:BYTE_3 src1_sel:DWORD
	v_cndmask_b32_e64 v23, v35, v23, s[6:7]
	v_cndmask_b32_e32 v11, v30, v11, vcc
	v_cmp_eq_u32_e32 vcc, 0, v29
	v_cndmask_b32_e64 v23, v32, v23, s[2:3]
	s_or_b64 s[60:61], vcc, s[60:61]
	global_store_byte v[19:20], v23, off
	global_store_byte v[21:22], v11, off
	s_andn2_b64 exec, exec, s[60:61]
	s_cbranch_execnz .LBB18_530
; %bb.531:                              ;   in Loop: Header=BB18_9 Depth=1
	s_or_b64 exec, exec, s[60:61]
	v_cmp_ne_u32_e32 vcc, v4, v25
	v_lshl_add_u32 v1, v25, 5, v1
	s_orn2_b64 s[2:3], vcc, exec
.LBB18_532:                             ;   in Loop: Header=BB18_9 Depth=1
	s_or_b64 exec, exec, s[58:59]
	s_and_b64 exec, exec, s[2:3]
	s_cbranch_execz .LBB18_555
; %bb.533:                              ;   in Loop: Header=BB18_9 Depth=1
	v_ashrrev_i32_e32 v2, 31, v1
	v_lshlrev_b64 v[3:4], 1, v[1:2]
	v_mov_b32_e32 v10, s85
	v_add_co_u32_e32 v3, vcc, v17, v3
	v_addc_co_u32_e32 v4, vcc, v18, v4, vcc
	v_add_co_u32_e32 v3, vcc, v3, v13
	v_addc_co_u32_e32 v4, vcc, v4, v14, vcc
	;; [unrolled: 2-line block ×5, first 2 shown]
	s_mov_b64 s[4:5], 0
	s_branch .LBB18_535
.LBB18_534:                             ;   in Loop: Header=BB18_535 Depth=2
	s_or_b64 exec, exec, s[2:3]
	v_add_co_u32_e32 v3, vcc, 64, v3
	v_add_u32_e32 v1, 32, v1
	v_addc_co_u32_e32 v4, vcc, 0, v4, vcc
	v_cmp_ge_i32_e32 vcc, v1, v31
	global_store_byte v[13:14], v11, off
	s_or_b64 s[4:5], vcc, s[4:5]
	v_add_co_u32_e32 v13, vcc, 32, v13
	v_addc_co_u32_e32 v14, vcc, 0, v14, vcc
	s_andn2_b64 exec, exec, s[4:5]
	s_cbranch_execz .LBB18_555
.LBB18_535:                             ;   Parent Loop BB18_9 Depth=1
                                        ; =>  This Inner Loop Header: Depth=2
	global_load_ushort v2, v[3:4], off
	s_waitcnt vmcnt(0)
	v_cvt_f32_f16_e32 v2, v2
	v_div_scale_f32 v10, s[2:3], s33, s33, v2
	v_div_scale_f32 v11, vcc, v2, s33, v2
	v_rcp_f32_e32 v15, v10
	v_fma_f32 v16, -v10, v15, 1.0
	v_fmac_f32_e32 v15, v16, v15
	v_mul_f32_e32 v16, v11, v15
	v_fma_f32 v17, -v10, v16, v11
	v_fmac_f32_e32 v16, v17, v15
	v_fma_f32 v10, -v10, v16, v11
	v_div_fmas_f32 v10, v10, v15, v16
	v_div_fixup_f32 v2, v10, s33, v2
	v_cvt_f16_f32_e32 v2, v2
	v_cvt_f32_f16_e32 v10, v2
	v_and_b32_e32 v11, 0x7f800000, v10
	v_cmp_ne_u64_e32 vcc, s[46:47], v[11:12]
                                        ; implicit-def: $vgpr11
	s_and_saveexec_b64 s[2:3], vcc
	s_xor_b64 s[6:7], exec, s[2:3]
	s_cbranch_execz .LBB18_553
; %bb.536:                              ;   in Loop: Header=BB18_535 Depth=2
	v_and_b32_e32 v11, 0x7fffffff, v10
	v_cmp_gt_u64_e32 vcc, s[48:49], v[11:12]
	v_and_b32_sdwa v2, v10, s87 dst_sel:DWORD dst_unused:UNUSED_PAD src0_sel:BYTE_3 src1_sel:DWORD
                                        ; implicit-def: $vgpr11
	s_and_saveexec_b64 s[2:3], vcc
	s_xor_b64 s[8:9], exec, s[2:3]
	s_cbranch_execz .LBB18_550
; %bb.537:                              ;   in Loop: Header=BB18_535 Depth=2
	v_cmp_ne_u32_e32 vcc, 0, v10
	v_mov_b32_e32 v11, 0
	s_and_saveexec_b64 s[10:11], vcc
	s_cbranch_execz .LBB18_549
; %bb.538:                              ;   in Loop: Header=BB18_535 Depth=2
	v_bfe_u32 v17, v10, 23, 8
	v_and_b32_e32 v11, 0x7fffff, v10
	v_sub_u32_e32 v10, 0x79, v17
	v_cmp_gt_u32_e32 vcc, s88, v17
	v_cndmask_b32_e32 v10, 0, v10, vcc
	v_cmp_eq_u32_e32 vcc, 0, v17
	v_cndmask_b32_e32 v18, v10, v49, vcc
	v_add_u32_e32 v10, 20, v18
	v_or_b32_e32 v19, 0x800000, v11
	v_lshlrev_b64 v[15:16], v10, -1
	v_cndmask_b32_e32 v11, v19, v11, vcc
	v_add_u32_e32 v10, 19, v18
	v_bfi_b32 v15, v15, 0, v11
	v_lshlrev_b64 v[19:20], v10, 1
	v_lshrrev_b64 v[10:11], v18, v[11:12]
	v_bfi_b32 v16, v16, 0, 0
	v_cmp_eq_u64_e64 s[2:3], v[15:16], v[19:20]
	v_mov_b32_e32 v16, v11
	v_mov_b32_e32 v15, v10
	s_and_saveexec_b64 s[12:13], s[2:3]
; %bb.539:                              ;   in Loop: Header=BB18_535 Depth=2
	v_bfe_u32 v11, v10, 20, 1
	v_add_co_u32_e64 v11, s[2:3], v10, v11
	v_add_co_u32_e64 v15, s[2:3], -1, v11
; %bb.540:                              ;   in Loop: Header=BB18_535 Depth=2
	s_or_b64 exec, exec, s[12:13]
	v_add_u32_e32 v11, 0xffffff81, v17
	v_cndmask_b32_e32 v11, v11, v50, vcc
	v_lshrrev_b32_e32 v16, 23, v10
	v_add3_u32 v19, v18, v11, v16
	v_add_u32_e32 v18, 6, v19
	v_and_b32_e32 v11, 0xfffff, v15
	v_add_u32_e32 v11, v11, v10
	v_cmp_ne_u32_e32 vcc, 0, v18
                                        ; implicit-def: $vgpr15_vgpr16
                                        ; implicit-def: $vgpr17
	s_and_saveexec_b64 s[2:3], vcc
	s_xor_b64 s[2:3], exec, s[2:3]
; %bb.541:                              ;   in Loop: Header=BB18_535 Depth=2
	v_cmp_lt_u64_e32 vcc, s[50:51], v[11:12]
	v_add_u32_e32 v10, 7, v19
	v_cndmask_b32_e32 v17, v18, v10, vcc
	v_cndmask_b32_e64 v10, 0, 1, vcc
	v_lshrrev_b64 v[15:16], v10, v[11:12]
; %bb.542:                              ;   in Loop: Header=BB18_535 Depth=2
	s_andn2_saveexec_b64 s[2:3], s[2:3]
; %bb.543:                              ;   in Loop: Header=BB18_535 Depth=2
	v_mov_b32_e32 v16, v12
	v_bfe_u32 v17, v11, 23, 1
	v_mov_b32_e32 v15, v11
; %bb.544:                              ;   in Loop: Header=BB18_535 Depth=2
	s_or_b64 exec, exec, s[2:3]
	v_lshrrev_b64 v[10:11], 20, v[15:16]
	v_cmp_gt_i32_e32 vcc, 16, v17
	v_cndmask_b32_e32 v11, 0, v11, vcc
	v_cndmask_b32_e32 v10, 7, v10, vcc
	v_cmp_ne_u64_e32 vcc, 0, v[10:11]
	v_cmp_ne_u32_e64 s[2:3], 0, v17
	s_or_b64 s[2:3], s[2:3], vcc
                                        ; implicit-def: $vgpr11
	s_and_saveexec_b64 s[12:13], s[2:3]
	s_xor_b64 s[2:3], exec, s[12:13]
; %bb.545:                              ;   in Loop: Header=BB18_535 Depth=2
	v_min_i32_e32 v11, 15, v17
	v_lshl_or_b32 v2, v11, 3, v2
	v_and_or_b32 v11, v10, 7, v2
                                        ; implicit-def: $vgpr2
; %bb.546:                              ;   in Loop: Header=BB18_535 Depth=2
	s_andn2_saveexec_b64 s[2:3], s[2:3]
; %bb.547:                              ;   in Loop: Header=BB18_535 Depth=2
	v_mov_b32_e32 v11, v2
; %bb.548:                              ;   in Loop: Header=BB18_535 Depth=2
	s_or_b64 exec, exec, s[2:3]
.LBB18_549:                             ;   in Loop: Header=BB18_535 Depth=2
	s_or_b64 exec, exec, s[10:11]
                                        ; implicit-def: $vgpr2
.LBB18_550:                             ;   in Loop: Header=BB18_535 Depth=2
	s_andn2_saveexec_b64 s[2:3], s[8:9]
; %bb.551:                              ;   in Loop: Header=BB18_535 Depth=2
	v_or_b32_e32 v11, 0x7e, v2
; %bb.552:                              ;   in Loop: Header=BB18_535 Depth=2
	s_or_b64 exec, exec, s[2:3]
                                        ; implicit-def: $vgpr10
.LBB18_553:                             ;   in Loop: Header=BB18_535 Depth=2
	s_andn2_saveexec_b64 s[2:3], s[6:7]
	s_cbranch_execz .LBB18_534
; %bb.554:                              ;   in Loop: Header=BB18_535 Depth=2
	v_or_b32_sdwa v11, v10, s91 dst_sel:DWORD dst_unused:UNUSED_PAD src0_sel:BYTE_3 src1_sel:DWORD
	s_branch .LBB18_534
.LBB18_555:                             ;   in Loop: Header=BB18_9 Depth=1
	s_or_b64 exec, exec, s[56:57]
                                        ; implicit-def: $vgpr13_vgpr14
.LBB18_556:                             ;   in Loop: Header=BB18_9 Depth=1
	s_andn2_saveexec_b64 s[4:5], s[54:55]
	s_cbranch_execz .LBB18_8
; %bb.557:                              ;   in Loop: Header=BB18_9 Depth=1
	s_and_saveexec_b64 s[6:7], s[0:1]
	s_cbranch_execz .LBB18_7
; %bb.558:                              ;   in Loop: Header=BB18_9 Depth=1
	s_waitcnt vmcnt(2)
	v_add_co_u32_e32 v13, vcc, v48, v13
	v_mov_b32_e32 v16, v8
	s_waitcnt vmcnt(1)
	v_addc_co_u32_e32 v14, vcc, v60, v14, vcc
	s_mov_b64 s[8:9], 0
	v_mov_b32_e32 v15, v7
	v_mov_b32_e32 v25, v37
	s_branch .LBB18_560
.LBB18_559:                             ;   in Loop: Header=BB18_560 Depth=2
	s_or_b64 exec, exec, s[2:3]
	v_lshlrev_b32_e32 v4, 16, v20
	v_lshlrev_b32_e32 v3, 24, v21
	v_and_b32_e32 v4, 0xff0000, v4
	v_lshlrev_b32_e32 v2, 8, v2
	v_or_b32_e32 v3, v3, v4
	v_and_b32_e32 v2, 0xff00, v2
	v_and_b32_e32 v4, 0xff, v19
	v_or3_b32 v2, v3, v2, v4
	v_lshlrev_b32_e32 v3, 16, v18
	v_lshlrev_b32_e32 v4, 8, v17
	v_perm_b32 v1, v1, v3, s93
	v_and_or_b32 v1, v4, s92, v1
	v_or_b32_sdwa v1, v1, v10 dst_sel:DWORD dst_unused:UNUSED_PAD src0_sel:DWORD src1_sel:BYTE_0
	global_store_dwordx2 v[15:16], v[1:2], off
	v_add_co_u32_e32 v15, vcc, 0x100, v15
	v_add_u32_e32 v25, 32, v25
	v_addc_co_u32_e32 v16, vcc, 0, v16, vcc
	v_add_co_u32_e32 v13, vcc, 0x200, v13
	v_cmp_le_i32_e64 s[2:3], s77, v25
	s_or_b64 s[8:9], s[2:3], s[8:9]
	v_addc_co_u32_e32 v14, vcc, 0, v14, vcc
	s_andn2_b64 exec, exec, s[8:9]
	s_cbranch_execz .LBB18_7
.LBB18_560:                             ;   Parent Loop BB18_9 Depth=1
                                        ; =>  This Inner Loop Header: Depth=2
	global_load_dwordx4 v[1:4], v[13:14], off
	s_waitcnt vmcnt(0)
	v_cvt_f32_f16_e32 v10, v1
	v_div_scale_f32 v11, s[2:3], s33, s33, v10
	v_div_scale_f32 v17, vcc, v10, s33, v10
	v_rcp_f32_e32 v18, v11
	v_fma_f32 v19, -v11, v18, 1.0
	v_fmac_f32_e32 v18, v19, v18
	v_mul_f32_e32 v19, v17, v18
	v_fma_f32 v20, -v11, v19, v17
	v_fmac_f32_e32 v19, v20, v18
	v_fma_f32 v11, -v11, v19, v17
	v_div_fmas_f32 v11, v11, v18, v19
	v_div_fixup_f32 v10, v11, s33, v10
	v_cvt_f16_f32_e32 v10, v10
	v_cvt_f32_f16_e32 v18, v10
	v_and_b32_e32 v11, 0x7f800000, v18
	v_cmp_ne_u64_e32 vcc, s[46:47], v[11:12]
                                        ; implicit-def: $vgpr10_vgpr11
	s_and_saveexec_b64 s[2:3], vcc
	s_xor_b64 s[10:11], exec, s[2:3]
	s_cbranch_execz .LBB18_576
; %bb.561:                              ;   in Loop: Header=BB18_560 Depth=2
	v_and_b32_e32 v11, 0x7fffffff, v18
	v_cmp_gt_u64_e32 vcc, s[48:49], v[11:12]
	v_and_b32_sdwa v17, v18, s87 dst_sel:DWORD dst_unused:UNUSED_PAD src0_sel:BYTE_3 src1_sel:DWORD
                                        ; implicit-def: $vgpr10_vgpr11
	s_and_saveexec_b64 s[2:3], vcc
	s_xor_b64 s[12:13], exec, s[2:3]
	s_cbranch_execz .LBB18_573
; %bb.562:                              ;   in Loop: Header=BB18_560 Depth=2
	v_mov_b32_e32 v10, 0
	v_cmp_ne_u32_e32 vcc, 0, v18
	v_mov_b32_e32 v11, 0
	s_and_saveexec_b64 s[14:15], vcc
	s_cbranch_execz .LBB18_572
; %bb.563:                              ;   in Loop: Header=BB18_560 Depth=2
	v_bfe_u32 v20, v18, 23, 8
	v_sub_u32_e32 v11, 0x79, v20
	v_cmp_gt_u32_e32 vcc, s88, v20
	v_cndmask_b32_e32 v11, 0, v11, vcc
	v_cmp_eq_u32_e32 vcc, 0, v20
	v_cndmask_b32_e32 v21, v11, v49, vcc
	v_and_b32_e32 v10, 0x7fffff, v18
	v_add_u32_e32 v11, 20, v21
	v_or_b32_e32 v22, 0x800000, v10
	v_lshlrev_b64 v[18:19], v11, -1
	v_cndmask_b32_e32 v11, v22, v10, vcc
	v_add_u32_e32 v10, 19, v21
	v_bfi_b32 v18, v18, 0, v11
	v_lshlrev_b64 v[22:23], v10, 1
	v_lshrrev_b64 v[10:11], v21, v[11:12]
	v_bfi_b32 v19, v19, 0, 0
	v_cmp_eq_u64_e64 s[2:3], v[18:19], v[22:23]
	v_mov_b32_e32 v19, v11
	v_mov_b32_e32 v18, v10
	s_and_saveexec_b64 s[16:17], s[2:3]
; %bb.564:                              ;   in Loop: Header=BB18_560 Depth=2
	v_bfe_u32 v11, v10, 20, 1
	v_add_co_u32_e64 v11, s[2:3], v10, v11
	v_add_co_u32_e64 v18, s[2:3], -1, v11
; %bb.565:                              ;   in Loop: Header=BB18_560 Depth=2
	s_or_b64 exec, exec, s[16:17]
	v_add_u32_e32 v11, 0xffffff81, v20
	v_cndmask_b32_e32 v11, v11, v50, vcc
	v_lshrrev_b32_e32 v19, 23, v10
	v_add3_u32 v22, v21, v11, v19
	v_add_u32_e32 v21, 6, v22
	v_and_b32_e32 v11, 0xfffff, v18
	v_add_u32_e32 v11, v11, v10
	v_cmp_ne_u32_e32 vcc, 0, v21
                                        ; implicit-def: $vgpr18_vgpr19
                                        ; implicit-def: $vgpr20
	s_and_saveexec_b64 s[2:3], vcc
	s_xor_b64 s[2:3], exec, s[2:3]
; %bb.566:                              ;   in Loop: Header=BB18_560 Depth=2
	v_cmp_lt_u64_e32 vcc, s[50:51], v[11:12]
	v_add_u32_e32 v10, 7, v22
	v_cndmask_b32_e32 v20, v21, v10, vcc
	v_cndmask_b32_e64 v10, 0, 1, vcc
	v_lshrrev_b64 v[18:19], v10, v[11:12]
; %bb.567:                              ;   in Loop: Header=BB18_560 Depth=2
	s_andn2_saveexec_b64 s[2:3], s[2:3]
; %bb.568:                              ;   in Loop: Header=BB18_560 Depth=2
	v_mov_b32_e32 v19, v12
	v_bfe_u32 v20, v11, 23, 1
	v_mov_b32_e32 v18, v11
; %bb.569:                              ;   in Loop: Header=BB18_560 Depth=2
	s_or_b64 exec, exec, s[2:3]
	v_lshrrev_b64 v[10:11], 20, v[18:19]
	v_cmp_gt_i32_e32 vcc, 16, v20
	v_cndmask_b32_e32 v19, 0, v11, vcc
	v_cndmask_b32_e32 v18, 7, v10, vcc
	v_cmp_ne_u64_e32 vcc, 0, v[18:19]
	v_cmp_ne_u32_e64 s[2:3], 0, v20
	s_or_b64 s[2:3], s[2:3], vcc
	v_mov_b32_e32 v10, v17
	v_mov_b32_e32 v11, v18
	s_and_saveexec_b64 s[16:17], s[2:3]
	s_xor_b64 s[2:3], exec, s[16:17]
; %bb.570:                              ;   in Loop: Header=BB18_560 Depth=2
	v_min_i32_e32 v10, 15, v20
	v_lshl_or_b32 v10, v10, 3, v17
	v_and_or_b32 v10, v18, 7, v10
; %bb.571:                              ;   in Loop: Header=BB18_560 Depth=2
	s_andn2_saveexec_b64 s[2:3], s[2:3]
	s_or_b64 exec, exec, s[2:3]
.LBB18_572:                             ;   in Loop: Header=BB18_560 Depth=2
	s_or_b64 exec, exec, s[14:15]
                                        ; implicit-def: $vgpr17
.LBB18_573:                             ;   in Loop: Header=BB18_560 Depth=2
	s_andn2_saveexec_b64 s[2:3], s[12:13]
; %bb.574:                              ;   in Loop: Header=BB18_560 Depth=2
	v_or_b32_e32 v10, 0x7e, v17
; %bb.575:                              ;   in Loop: Header=BB18_560 Depth=2
	s_or_b64 exec, exec, s[2:3]
                                        ; implicit-def: $vgpr18
.LBB18_576:                             ;   in Loop: Header=BB18_560 Depth=2
	s_andn2_saveexec_b64 s[2:3], s[10:11]
; %bb.577:                              ;   in Loop: Header=BB18_560 Depth=2
	v_or_b32_sdwa v10, v18, s91 dst_sel:DWORD dst_unused:UNUSED_PAD src0_sel:BYTE_3 src1_sel:DWORD
; %bb.578:                              ;   in Loop: Header=BB18_560 Depth=2
	s_or_b64 exec, exec, s[2:3]
	v_cvt_f32_f16_sdwa v1, v1 dst_sel:DWORD dst_unused:UNUSED_PAD src0_sel:WORD_1
	v_div_scale_f32 v11, s[2:3], s33, s33, v1
	v_div_scale_f32 v17, vcc, v1, s33, v1
	v_rcp_f32_e32 v18, v11
	v_fma_f32 v19, -v11, v18, 1.0
	v_fmac_f32_e32 v18, v19, v18
	v_mul_f32_e32 v19, v17, v18
	v_fma_f32 v20, -v11, v19, v17
	v_fmac_f32_e32 v19, v20, v18
	v_fma_f32 v11, -v11, v19, v17
	v_div_fmas_f32 v11, v11, v18, v19
                                        ; implicit-def: $vgpr17_vgpr18
	v_div_fixup_f32 v1, v11, s33, v1
	v_cvt_f16_f32_e32 v1, v1
	v_cvt_f32_f16_e32 v19, v1
	v_and_b32_e32 v11, 0x7f800000, v19
	v_cmp_ne_u64_e32 vcc, s[46:47], v[11:12]
	s_and_saveexec_b64 s[2:3], vcc
	s_xor_b64 s[10:11], exec, s[2:3]
	s_cbranch_execz .LBB18_594
; %bb.579:                              ;   in Loop: Header=BB18_560 Depth=2
	v_and_b32_e32 v11, 0x7fffffff, v19
	v_cmp_gt_u64_e32 vcc, s[48:49], v[11:12]
	v_and_b32_sdwa v1, v19, s87 dst_sel:DWORD dst_unused:UNUSED_PAD src0_sel:BYTE_3 src1_sel:DWORD
                                        ; implicit-def: $vgpr17_vgpr18
	s_and_saveexec_b64 s[2:3], vcc
	s_xor_b64 s[12:13], exec, s[2:3]
	s_cbranch_execz .LBB18_591
; %bb.580:                              ;   in Loop: Header=BB18_560 Depth=2
	v_mov_b32_e32 v17, 0
	v_cmp_ne_u32_e32 vcc, 0, v19
	v_mov_b32_e32 v18, 0
	s_and_saveexec_b64 s[14:15], vcc
	s_cbranch_execz .LBB18_590
; %bb.581:                              ;   in Loop: Header=BB18_560 Depth=2
	v_bfe_u32 v20, v19, 23, 8
	v_sub_u32_e32 v17, 0x79, v20
	v_cmp_gt_u32_e32 vcc, s88, v20
	v_cndmask_b32_e32 v17, 0, v17, vcc
	v_cmp_eq_u32_e32 vcc, 0, v20
	v_cndmask_b32_e32 v21, v17, v49, vcc
	v_and_b32_e32 v11, 0x7fffff, v19
	v_add_u32_e32 v17, 20, v21
	v_or_b32_e32 v19, 0x800000, v11
	v_lshlrev_b64 v[17:18], v17, -1
	v_cndmask_b32_e32 v11, v19, v11, vcc
	v_bfi_b32 v22, v17, 0, v11
	v_add_u32_e32 v17, 19, v21
	v_bfi_b32 v23, v18, 0, 0
	v_lshlrev_b64 v[26:27], v17, 1
	v_lshrrev_b64 v[17:18], v21, v[11:12]
	v_cmp_eq_u64_e64 s[2:3], v[22:23], v[26:27]
	v_mov_b32_e32 v19, v18
	v_mov_b32_e32 v18, v17
	s_and_saveexec_b64 s[16:17], s[2:3]
; %bb.582:                              ;   in Loop: Header=BB18_560 Depth=2
	v_bfe_u32 v11, v17, 20, 1
	v_add_co_u32_e64 v11, s[2:3], v17, v11
	v_add_co_u32_e64 v18, s[2:3], -1, v11
; %bb.583:                              ;   in Loop: Header=BB18_560 Depth=2
	s_or_b64 exec, exec, s[16:17]
	v_add_u32_e32 v11, 0xffffff81, v20
	v_cndmask_b32_e32 v11, v11, v50, vcc
	v_lshrrev_b32_e32 v19, 23, v17
	v_add3_u32 v20, v21, v11, v19
	v_add_u32_e32 v19, 6, v20
	v_and_b32_e32 v11, 0xfffff, v18
	v_add_u32_e32 v11, v11, v17
	v_cmp_ne_u32_e32 vcc, 0, v19
                                        ; implicit-def: $vgpr17_vgpr18
                                        ; implicit-def: $vgpr21
	s_and_saveexec_b64 s[2:3], vcc
	s_xor_b64 s[2:3], exec, s[2:3]
; %bb.584:                              ;   in Loop: Header=BB18_560 Depth=2
	v_cmp_lt_u64_e32 vcc, s[50:51], v[11:12]
	v_add_u32_e32 v17, 7, v20
	v_cndmask_b32_e32 v21, v19, v17, vcc
	v_cndmask_b32_e64 v17, 0, 1, vcc
	v_lshrrev_b64 v[17:18], v17, v[11:12]
; %bb.585:                              ;   in Loop: Header=BB18_560 Depth=2
	s_andn2_saveexec_b64 s[2:3], s[2:3]
; %bb.586:                              ;   in Loop: Header=BB18_560 Depth=2
	v_mov_b32_e32 v18, v12
	v_bfe_u32 v21, v11, 23, 1
	v_mov_b32_e32 v17, v11
; %bb.587:                              ;   in Loop: Header=BB18_560 Depth=2
	s_or_b64 exec, exec, s[2:3]
	v_lshrrev_b64 v[17:18], 20, v[17:18]
	v_cmp_gt_i32_e32 vcc, 16, v21
	v_cndmask_b32_e32 v20, 0, v18, vcc
	v_cndmask_b32_e32 v19, 7, v17, vcc
	v_cmp_ne_u64_e32 vcc, 0, v[19:20]
	v_cmp_ne_u32_e64 s[2:3], 0, v21
	v_mov_b32_e32 v18, v2
	s_or_b64 s[2:3], s[2:3], vcc
	v_mov_b32_e32 v17, v1
	s_and_saveexec_b64 s[16:17], s[2:3]
	s_xor_b64 s[2:3], exec, s[16:17]
; %bb.588:                              ;   in Loop: Header=BB18_560 Depth=2
	v_min_i32_e32 v11, 15, v21
	v_lshl_or_b32 v1, v11, 3, v1
	v_and_or_b32 v17, v19, 7, v1
; %bb.589:                              ;   in Loop: Header=BB18_560 Depth=2
	s_andn2_saveexec_b64 s[2:3], s[2:3]
	s_or_b64 exec, exec, s[2:3]
.LBB18_590:                             ;   in Loop: Header=BB18_560 Depth=2
	s_or_b64 exec, exec, s[14:15]
                                        ; implicit-def: $vgpr1
.LBB18_591:                             ;   in Loop: Header=BB18_560 Depth=2
	s_andn2_saveexec_b64 s[2:3], s[12:13]
; %bb.592:                              ;   in Loop: Header=BB18_560 Depth=2
	v_or_b32_e32 v17, 0x7e, v1
; %bb.593:                              ;   in Loop: Header=BB18_560 Depth=2
	s_or_b64 exec, exec, s[2:3]
                                        ; implicit-def: $vgpr19
.LBB18_594:                             ;   in Loop: Header=BB18_560 Depth=2
	s_andn2_saveexec_b64 s[2:3], s[10:11]
; %bb.595:                              ;   in Loop: Header=BB18_560 Depth=2
	v_or_b32_sdwa v17, v19, s91 dst_sel:DWORD dst_unused:UNUSED_PAD src0_sel:BYTE_3 src1_sel:DWORD
; %bb.596:                              ;   in Loop: Header=BB18_560 Depth=2
	s_or_b64 exec, exec, s[2:3]
	v_cvt_f32_f16_e32 v1, v2
	v_div_scale_f32 v11, s[2:3], s33, s33, v1
	v_div_scale_f32 v18, vcc, v1, s33, v1
	v_rcp_f32_e32 v19, v11
	v_fma_f32 v20, -v11, v19, 1.0
	v_fmac_f32_e32 v19, v20, v19
	v_mul_f32_e32 v20, v18, v19
	v_fma_f32 v21, -v11, v20, v18
	v_fmac_f32_e32 v20, v21, v19
	v_fma_f32 v11, -v11, v20, v18
	v_div_fmas_f32 v11, v11, v19, v20
                                        ; implicit-def: $vgpr18_vgpr19
	v_div_fixup_f32 v1, v11, s33, v1
	v_cvt_f16_f32_e32 v1, v1
	v_cvt_f32_f16_e32 v20, v1
	v_and_b32_e32 v11, 0x7f800000, v20
	v_cmp_ne_u64_e32 vcc, s[46:47], v[11:12]
	s_and_saveexec_b64 s[2:3], vcc
	s_xor_b64 s[10:11], exec, s[2:3]
	s_cbranch_execz .LBB18_612
; %bb.597:                              ;   in Loop: Header=BB18_560 Depth=2
	v_and_b32_e32 v11, 0x7fffffff, v20
	v_cmp_gt_u64_e32 vcc, s[48:49], v[11:12]
	v_and_b32_sdwa v1, v20, s87 dst_sel:DWORD dst_unused:UNUSED_PAD src0_sel:BYTE_3 src1_sel:DWORD
                                        ; implicit-def: $vgpr18_vgpr19
	s_and_saveexec_b64 s[2:3], vcc
	s_xor_b64 s[12:13], exec, s[2:3]
	s_cbranch_execz .LBB18_609
; %bb.598:                              ;   in Loop: Header=BB18_560 Depth=2
	v_mov_b32_e32 v18, 0
	v_cmp_ne_u32_e32 vcc, 0, v20
	v_mov_b32_e32 v19, 0
	s_and_saveexec_b64 s[14:15], vcc
	s_cbranch_execz .LBB18_608
; %bb.599:                              ;   in Loop: Header=BB18_560 Depth=2
	v_bfe_u32 v21, v20, 23, 8
	v_sub_u32_e32 v18, 0x79, v21
	v_cmp_gt_u32_e32 vcc, s88, v21
	v_cndmask_b32_e32 v18, 0, v18, vcc
	v_cmp_eq_u32_e32 vcc, 0, v21
	v_cndmask_b32_e32 v22, v18, v49, vcc
	v_and_b32_e32 v11, 0x7fffff, v20
	v_add_u32_e32 v18, 20, v22
	v_or_b32_e32 v20, 0x800000, v11
	v_lshlrev_b64 v[18:19], v18, -1
	v_cndmask_b32_e32 v11, v20, v11, vcc
	v_bfi_b32 v23, v18, 0, v11
	v_add_u32_e32 v18, 19, v22
	v_bfi_b32 v24, v19, 0, 0
	v_lshlrev_b64 v[26:27], v18, 1
	v_lshrrev_b64 v[18:19], v22, v[11:12]
	v_cmp_eq_u64_e64 s[2:3], v[23:24], v[26:27]
	v_mov_b32_e32 v20, v19
	v_mov_b32_e32 v19, v18
	s_and_saveexec_b64 s[16:17], s[2:3]
; %bb.600:                              ;   in Loop: Header=BB18_560 Depth=2
	v_bfe_u32 v11, v18, 20, 1
	v_add_co_u32_e64 v11, s[2:3], v18, v11
	v_add_co_u32_e64 v19, s[2:3], -1, v11
; %bb.601:                              ;   in Loop: Header=BB18_560 Depth=2
	s_or_b64 exec, exec, s[16:17]
	v_add_u32_e32 v11, 0xffffff81, v21
	v_cndmask_b32_e32 v11, v11, v50, vcc
	v_lshrrev_b32_e32 v20, 23, v18
	v_add3_u32 v21, v22, v11, v20
	v_add_u32_e32 v20, 6, v21
	v_and_b32_e32 v11, 0xfffff, v19
	v_add_u32_e32 v11, v11, v18
	v_cmp_ne_u32_e32 vcc, 0, v20
                                        ; implicit-def: $vgpr18_vgpr19
                                        ; implicit-def: $vgpr22
	s_and_saveexec_b64 s[2:3], vcc
	s_xor_b64 s[2:3], exec, s[2:3]
; %bb.602:                              ;   in Loop: Header=BB18_560 Depth=2
	v_cmp_lt_u64_e32 vcc, s[50:51], v[11:12]
	v_add_u32_e32 v18, 7, v21
	v_cndmask_b32_e32 v22, v20, v18, vcc
	v_cndmask_b32_e64 v18, 0, 1, vcc
	v_lshrrev_b64 v[18:19], v18, v[11:12]
; %bb.603:                              ;   in Loop: Header=BB18_560 Depth=2
	s_andn2_saveexec_b64 s[2:3], s[2:3]
; %bb.604:                              ;   in Loop: Header=BB18_560 Depth=2
	v_mov_b32_e32 v19, v12
	v_bfe_u32 v22, v11, 23, 1
	v_mov_b32_e32 v18, v11
; %bb.605:                              ;   in Loop: Header=BB18_560 Depth=2
	s_or_b64 exec, exec, s[2:3]
	v_lshrrev_b64 v[18:19], 20, v[18:19]
	v_cmp_gt_i32_e32 vcc, 16, v22
	v_cndmask_b32_e32 v21, 0, v19, vcc
	v_cndmask_b32_e32 v20, 7, v18, vcc
	v_cmp_ne_u64_e32 vcc, 0, v[20:21]
	v_cmp_ne_u32_e64 s[2:3], 0, v22
	v_mov_b32_e32 v19, v2
	s_or_b64 s[2:3], s[2:3], vcc
	v_mov_b32_e32 v18, v1
	s_and_saveexec_b64 s[16:17], s[2:3]
	s_xor_b64 s[2:3], exec, s[16:17]
; %bb.606:                              ;   in Loop: Header=BB18_560 Depth=2
	v_min_i32_e32 v11, 15, v22
	v_lshl_or_b32 v1, v11, 3, v1
	v_and_or_b32 v18, v20, 7, v1
; %bb.607:                              ;   in Loop: Header=BB18_560 Depth=2
	s_andn2_saveexec_b64 s[2:3], s[2:3]
	s_or_b64 exec, exec, s[2:3]
.LBB18_608:                             ;   in Loop: Header=BB18_560 Depth=2
	s_or_b64 exec, exec, s[14:15]
                                        ; implicit-def: $vgpr1
.LBB18_609:                             ;   in Loop: Header=BB18_560 Depth=2
	s_andn2_saveexec_b64 s[2:3], s[12:13]
; %bb.610:                              ;   in Loop: Header=BB18_560 Depth=2
	v_or_b32_e32 v18, 0x7e, v1
; %bb.611:                              ;   in Loop: Header=BB18_560 Depth=2
	s_or_b64 exec, exec, s[2:3]
                                        ; implicit-def: $vgpr20
.LBB18_612:                             ;   in Loop: Header=BB18_560 Depth=2
	s_andn2_saveexec_b64 s[2:3], s[10:11]
; %bb.613:                              ;   in Loop: Header=BB18_560 Depth=2
	v_or_b32_sdwa v18, v20, s91 dst_sel:DWORD dst_unused:UNUSED_PAD src0_sel:BYTE_3 src1_sel:DWORD
; %bb.614:                              ;   in Loop: Header=BB18_560 Depth=2
	s_or_b64 exec, exec, s[2:3]
	v_cvt_f32_f16_sdwa v1, v2 dst_sel:DWORD dst_unused:UNUSED_PAD src0_sel:WORD_1
	v_div_scale_f32 v2, s[2:3], s33, s33, v1
	v_div_scale_f32 v11, vcc, v1, s33, v1
	v_rcp_f32_e32 v19, v2
	v_fma_f32 v20, -v2, v19, 1.0
	v_fmac_f32_e32 v19, v20, v19
	v_mul_f32_e32 v20, v11, v19
	v_fma_f32 v21, -v2, v20, v11
	v_fmac_f32_e32 v20, v21, v19
	v_fma_f32 v2, -v2, v20, v11
	v_div_fmas_f32 v2, v2, v19, v20
	v_div_fixup_f32 v1, v2, s33, v1
	v_cvt_f16_f32_e32 v1, v1
	v_cvt_f32_f16_e32 v20, v1
                                        ; implicit-def: $vgpr1_vgpr2
	v_and_b32_e32 v11, 0x7f800000, v20
	v_cmp_ne_u64_e32 vcc, s[46:47], v[11:12]
	s_and_saveexec_b64 s[2:3], vcc
	s_xor_b64 s[10:11], exec, s[2:3]
	s_cbranch_execz .LBB18_630
; %bb.615:                              ;   in Loop: Header=BB18_560 Depth=2
	v_and_b32_e32 v11, 0x7fffffff, v20
	v_cmp_gt_u64_e32 vcc, s[48:49], v[11:12]
	v_and_b32_sdwa v19, v20, s87 dst_sel:DWORD dst_unused:UNUSED_PAD src0_sel:BYTE_3 src1_sel:DWORD
                                        ; implicit-def: $vgpr1_vgpr2
	s_and_saveexec_b64 s[2:3], vcc
	s_xor_b64 s[12:13], exec, s[2:3]
	s_cbranch_execz .LBB18_627
; %bb.616:                              ;   in Loop: Header=BB18_560 Depth=2
	v_mov_b32_e32 v1, 0
	v_cmp_ne_u32_e32 vcc, 0, v20
	v_mov_b32_e32 v2, 0
	s_and_saveexec_b64 s[14:15], vcc
	s_cbranch_execz .LBB18_626
; %bb.617:                              ;   in Loop: Header=BB18_560 Depth=2
	v_bfe_u32 v22, v20, 23, 8
	v_sub_u32_e32 v1, 0x79, v22
	v_cmp_gt_u32_e32 vcc, s88, v22
	v_cndmask_b32_e32 v1, 0, v1, vcc
	v_cmp_eq_u32_e32 vcc, 0, v22
	v_cndmask_b32_e32 v23, v1, v49, vcc
	v_and_b32_e32 v11, 0x7fffff, v20
	v_add_u32_e32 v1, 20, v23
	v_or_b32_e32 v20, 0x800000, v11
	v_lshlrev_b64 v[1:2], v1, -1
	v_cndmask_b32_e32 v11, v20, v11, vcc
	v_bfi_b32 v20, v1, 0, v11
	v_add_u32_e32 v1, 19, v23
	v_bfi_b32 v21, v2, 0, 0
	v_lshlrev_b64 v[26:27], v1, 1
	v_lshrrev_b64 v[1:2], v23, v[11:12]
	v_cmp_eq_u64_e64 s[2:3], v[20:21], v[26:27]
	v_mov_b32_e32 v21, v2
	v_mov_b32_e32 v20, v1
	s_and_saveexec_b64 s[16:17], s[2:3]
; %bb.618:                              ;   in Loop: Header=BB18_560 Depth=2
	v_bfe_u32 v2, v1, 20, 1
	v_add_co_u32_e64 v2, s[2:3], v1, v2
	v_add_co_u32_e64 v20, s[2:3], -1, v2
; %bb.619:                              ;   in Loop: Header=BB18_560 Depth=2
	s_or_b64 exec, exec, s[16:17]
	v_add_u32_e32 v2, 0xffffff81, v22
	v_cndmask_b32_e32 v2, v2, v50, vcc
	v_lshrrev_b32_e32 v11, 23, v1
	v_add3_u32 v23, v23, v2, v11
	v_add_u32_e32 v21, 6, v23
	v_and_b32_e32 v2, 0xfffff, v20
	v_add_u32_e32 v11, v2, v1
	v_cmp_ne_u32_e32 vcc, 0, v21
                                        ; implicit-def: $vgpr1_vgpr2
                                        ; implicit-def: $vgpr22
	s_and_saveexec_b64 s[2:3], vcc
	s_xor_b64 s[2:3], exec, s[2:3]
; %bb.620:                              ;   in Loop: Header=BB18_560 Depth=2
	v_cmp_lt_u64_e32 vcc, s[50:51], v[11:12]
	v_add_u32_e32 v1, 7, v23
	v_cndmask_b32_e32 v22, v21, v1, vcc
	v_cndmask_b32_e64 v1, 0, 1, vcc
	v_lshrrev_b64 v[1:2], v1, v[11:12]
; %bb.621:                              ;   in Loop: Header=BB18_560 Depth=2
	s_andn2_saveexec_b64 s[2:3], s[2:3]
; %bb.622:                              ;   in Loop: Header=BB18_560 Depth=2
	v_mov_b32_e32 v1, v11
	v_bfe_u32 v22, v11, 23, 1
	v_mov_b32_e32 v2, v12
; %bb.623:                              ;   in Loop: Header=BB18_560 Depth=2
	s_or_b64 exec, exec, s[2:3]
	v_lshrrev_b64 v[1:2], 20, v[1:2]
	v_cmp_gt_i32_e32 vcc, 16, v22
	v_cndmask_b32_e32 v21, 0, v2, vcc
	v_cndmask_b32_e32 v20, 7, v1, vcc
	v_cmp_ne_u64_e32 vcc, 0, v[20:21]
	v_cmp_ne_u32_e64 s[2:3], 0, v22
	s_or_b64 s[2:3], s[2:3], vcc
	v_mov_b32_e32 v1, v19
	v_mov_b32_e32 v2, v20
	s_and_saveexec_b64 s[16:17], s[2:3]
	s_xor_b64 s[2:3], exec, s[16:17]
; %bb.624:                              ;   in Loop: Header=BB18_560 Depth=2
	v_min_i32_e32 v1, 15, v22
	v_lshl_or_b32 v1, v1, 3, v19
	v_and_or_b32 v1, v20, 7, v1
; %bb.625:                              ;   in Loop: Header=BB18_560 Depth=2
	s_andn2_saveexec_b64 s[2:3], s[2:3]
	s_or_b64 exec, exec, s[2:3]
.LBB18_626:                             ;   in Loop: Header=BB18_560 Depth=2
	s_or_b64 exec, exec, s[14:15]
                                        ; implicit-def: $vgpr19
.LBB18_627:                             ;   in Loop: Header=BB18_560 Depth=2
	s_andn2_saveexec_b64 s[2:3], s[12:13]
; %bb.628:                              ;   in Loop: Header=BB18_560 Depth=2
	v_or_b32_e32 v1, 0x7e, v19
; %bb.629:                              ;   in Loop: Header=BB18_560 Depth=2
	s_or_b64 exec, exec, s[2:3]
                                        ; implicit-def: $vgpr20
.LBB18_630:                             ;   in Loop: Header=BB18_560 Depth=2
	s_andn2_saveexec_b64 s[2:3], s[10:11]
; %bb.631:                              ;   in Loop: Header=BB18_560 Depth=2
	v_or_b32_sdwa v1, v20, s91 dst_sel:DWORD dst_unused:UNUSED_PAD src0_sel:BYTE_3 src1_sel:DWORD
; %bb.632:                              ;   in Loop: Header=BB18_560 Depth=2
	s_or_b64 exec, exec, s[2:3]
	v_cvt_f32_f16_e32 v2, v3
	v_div_scale_f32 v11, s[2:3], s33, s33, v2
	v_div_scale_f32 v19, vcc, v2, s33, v2
	v_rcp_f32_e32 v20, v11
	v_fma_f32 v21, -v11, v20, 1.0
	v_fmac_f32_e32 v20, v21, v20
	v_mul_f32_e32 v21, v19, v20
	v_fma_f32 v22, -v11, v21, v19
	v_fmac_f32_e32 v21, v22, v20
	v_fma_f32 v11, -v11, v21, v19
	v_div_fmas_f32 v11, v11, v20, v21
                                        ; implicit-def: $vgpr19_vgpr20
	v_div_fixup_f32 v2, v11, s33, v2
	v_cvt_f16_f32_e32 v2, v2
	v_cvt_f32_f16_e32 v21, v2
	v_and_b32_e32 v11, 0x7f800000, v21
	v_cmp_ne_u64_e32 vcc, s[46:47], v[11:12]
	s_and_saveexec_b64 s[2:3], vcc
	s_xor_b64 s[10:11], exec, s[2:3]
	s_cbranch_execz .LBB18_648
; %bb.633:                              ;   in Loop: Header=BB18_560 Depth=2
	v_and_b32_e32 v11, 0x7fffffff, v21
	v_cmp_gt_u64_e32 vcc, s[48:49], v[11:12]
	v_and_b32_sdwa v2, v21, s87 dst_sel:DWORD dst_unused:UNUSED_PAD src0_sel:BYTE_3 src1_sel:DWORD
                                        ; implicit-def: $vgpr19_vgpr20
	s_and_saveexec_b64 s[2:3], vcc
	s_xor_b64 s[12:13], exec, s[2:3]
	s_cbranch_execz .LBB18_645
; %bb.634:                              ;   in Loop: Header=BB18_560 Depth=2
	v_mov_b32_e32 v19, 0
	v_cmp_ne_u32_e32 vcc, 0, v21
	v_mov_b32_e32 v20, 0
	s_and_saveexec_b64 s[14:15], vcc
	s_cbranch_execz .LBB18_644
; %bb.635:                              ;   in Loop: Header=BB18_560 Depth=2
	v_bfe_u32 v22, v21, 23, 8
	v_sub_u32_e32 v19, 0x79, v22
	v_cmp_gt_u32_e32 vcc, s88, v22
	v_cndmask_b32_e32 v19, 0, v19, vcc
	v_cmp_eq_u32_e32 vcc, 0, v22
	v_cndmask_b32_e32 v23, v19, v49, vcc
	v_and_b32_e32 v11, 0x7fffff, v21
	v_add_u32_e32 v19, 20, v23
	v_or_b32_e32 v21, 0x800000, v11
	v_lshlrev_b64 v[19:20], v19, -1
	v_cndmask_b32_e32 v11, v21, v11, vcc
	v_bfi_b32 v26, v19, 0, v11
	v_add_u32_e32 v19, 19, v23
	v_bfi_b32 v27, v20, 0, 0
	v_lshlrev_b64 v[28:29], v19, 1
	v_lshrrev_b64 v[19:20], v23, v[11:12]
	v_cmp_eq_u64_e64 s[2:3], v[26:27], v[28:29]
	v_mov_b32_e32 v21, v20
	v_mov_b32_e32 v20, v19
	s_and_saveexec_b64 s[16:17], s[2:3]
; %bb.636:                              ;   in Loop: Header=BB18_560 Depth=2
	v_bfe_u32 v11, v19, 20, 1
	v_add_co_u32_e64 v11, s[2:3], v19, v11
	v_add_co_u32_e64 v20, s[2:3], -1, v11
; %bb.637:                              ;   in Loop: Header=BB18_560 Depth=2
	s_or_b64 exec, exec, s[16:17]
	v_add_u32_e32 v11, 0xffffff81, v22
	v_cndmask_b32_e32 v11, v11, v50, vcc
	v_lshrrev_b32_e32 v21, 23, v19
	v_add3_u32 v22, v23, v11, v21
	v_add_u32_e32 v21, 6, v22
	v_and_b32_e32 v11, 0xfffff, v20
	v_add_u32_e32 v11, v11, v19
	v_cmp_ne_u32_e32 vcc, 0, v21
                                        ; implicit-def: $vgpr19_vgpr20
                                        ; implicit-def: $vgpr23
	s_and_saveexec_b64 s[2:3], vcc
	s_xor_b64 s[2:3], exec, s[2:3]
; %bb.638:                              ;   in Loop: Header=BB18_560 Depth=2
	v_cmp_lt_u64_e32 vcc, s[50:51], v[11:12]
	v_add_u32_e32 v19, 7, v22
	v_cndmask_b32_e32 v23, v21, v19, vcc
	v_cndmask_b32_e64 v19, 0, 1, vcc
	v_lshrrev_b64 v[19:20], v19, v[11:12]
; %bb.639:                              ;   in Loop: Header=BB18_560 Depth=2
	s_andn2_saveexec_b64 s[2:3], s[2:3]
; %bb.640:                              ;   in Loop: Header=BB18_560 Depth=2
	v_mov_b32_e32 v20, v12
	v_bfe_u32 v23, v11, 23, 1
	v_mov_b32_e32 v19, v11
; %bb.641:                              ;   in Loop: Header=BB18_560 Depth=2
	s_or_b64 exec, exec, s[2:3]
	v_lshrrev_b64 v[19:20], 20, v[19:20]
	v_cmp_gt_i32_e32 vcc, 16, v23
	v_cndmask_b32_e32 v22, 0, v20, vcc
	v_cndmask_b32_e32 v21, 7, v19, vcc
	v_cmp_ne_u64_e32 vcc, 0, v[21:22]
	v_cmp_ne_u32_e64 s[2:3], 0, v23
	v_mov_b32_e32 v20, v3
	s_or_b64 s[2:3], s[2:3], vcc
	v_mov_b32_e32 v19, v2
	s_and_saveexec_b64 s[16:17], s[2:3]
	s_xor_b64 s[2:3], exec, s[16:17]
; %bb.642:                              ;   in Loop: Header=BB18_560 Depth=2
	v_min_i32_e32 v11, 15, v23
	v_lshl_or_b32 v2, v11, 3, v2
	v_and_or_b32 v19, v21, 7, v2
; %bb.643:                              ;   in Loop: Header=BB18_560 Depth=2
	s_andn2_saveexec_b64 s[2:3], s[2:3]
	s_or_b64 exec, exec, s[2:3]
.LBB18_644:                             ;   in Loop: Header=BB18_560 Depth=2
	s_or_b64 exec, exec, s[14:15]
                                        ; implicit-def: $vgpr2
.LBB18_645:                             ;   in Loop: Header=BB18_560 Depth=2
	s_andn2_saveexec_b64 s[2:3], s[12:13]
; %bb.646:                              ;   in Loop: Header=BB18_560 Depth=2
	v_or_b32_e32 v19, 0x7e, v2
; %bb.647:                              ;   in Loop: Header=BB18_560 Depth=2
	s_or_b64 exec, exec, s[2:3]
                                        ; implicit-def: $vgpr21
.LBB18_648:                             ;   in Loop: Header=BB18_560 Depth=2
	s_andn2_saveexec_b64 s[2:3], s[10:11]
; %bb.649:                              ;   in Loop: Header=BB18_560 Depth=2
	v_or_b32_sdwa v19, v21, s91 dst_sel:DWORD dst_unused:UNUSED_PAD src0_sel:BYTE_3 src1_sel:DWORD
; %bb.650:                              ;   in Loop: Header=BB18_560 Depth=2
	s_or_b64 exec, exec, s[2:3]
	v_cvt_f32_f16_sdwa v2, v3 dst_sel:DWORD dst_unused:UNUSED_PAD src0_sel:WORD_1
	v_div_scale_f32 v3, s[2:3], s33, s33, v2
	v_div_scale_f32 v11, vcc, v2, s33, v2
	v_rcp_f32_e32 v20, v3
	v_fma_f32 v21, -v3, v20, 1.0
	v_fmac_f32_e32 v20, v21, v20
	v_mul_f32_e32 v21, v11, v20
	v_fma_f32 v22, -v3, v21, v11
	v_fmac_f32_e32 v21, v22, v20
	v_fma_f32 v3, -v3, v21, v11
	v_div_fmas_f32 v3, v3, v20, v21
	v_div_fixup_f32 v2, v3, s33, v2
	v_cvt_f16_f32_e32 v2, v2
	v_cvt_f32_f16_e32 v21, v2
                                        ; implicit-def: $vgpr2_vgpr3
	v_and_b32_e32 v11, 0x7f800000, v21
	v_cmp_ne_u64_e32 vcc, s[46:47], v[11:12]
	s_and_saveexec_b64 s[2:3], vcc
	s_xor_b64 s[10:11], exec, s[2:3]
	s_cbranch_execz .LBB18_666
; %bb.651:                              ;   in Loop: Header=BB18_560 Depth=2
	v_and_b32_e32 v11, 0x7fffffff, v21
	v_cmp_gt_u64_e32 vcc, s[48:49], v[11:12]
	v_and_b32_sdwa v20, v21, s87 dst_sel:DWORD dst_unused:UNUSED_PAD src0_sel:BYTE_3 src1_sel:DWORD
                                        ; implicit-def: $vgpr2_vgpr3
	s_and_saveexec_b64 s[2:3], vcc
	s_xor_b64 s[12:13], exec, s[2:3]
	s_cbranch_execz .LBB18_663
; %bb.652:                              ;   in Loop: Header=BB18_560 Depth=2
	v_mov_b32_e32 v2, 0
	v_cmp_ne_u32_e32 vcc, 0, v21
	v_mov_b32_e32 v3, 0
	s_and_saveexec_b64 s[14:15], vcc
	s_cbranch_execz .LBB18_662
; %bb.653:                              ;   in Loop: Header=BB18_560 Depth=2
	v_bfe_u32 v23, v21, 23, 8
	v_sub_u32_e32 v2, 0x79, v23
	v_cmp_gt_u32_e32 vcc, s88, v23
	v_cndmask_b32_e32 v2, 0, v2, vcc
	v_cmp_eq_u32_e32 vcc, 0, v23
	v_cndmask_b32_e32 v24, v2, v49, vcc
	v_and_b32_e32 v11, 0x7fffff, v21
	v_add_u32_e32 v2, 20, v24
	v_or_b32_e32 v21, 0x800000, v11
	v_lshlrev_b64 v[2:3], v2, -1
	v_cndmask_b32_e32 v11, v21, v11, vcc
	v_bfi_b32 v21, v2, 0, v11
	v_add_u32_e32 v2, 19, v24
	v_bfi_b32 v22, v3, 0, 0
	v_lshlrev_b64 v[26:27], v2, 1
	v_lshrrev_b64 v[2:3], v24, v[11:12]
	v_cmp_eq_u64_e64 s[2:3], v[21:22], v[26:27]
	v_mov_b32_e32 v22, v3
	v_mov_b32_e32 v21, v2
	s_and_saveexec_b64 s[16:17], s[2:3]
; %bb.654:                              ;   in Loop: Header=BB18_560 Depth=2
	v_bfe_u32 v3, v2, 20, 1
	v_add_co_u32_e64 v3, s[2:3], v2, v3
	v_add_co_u32_e64 v21, s[2:3], -1, v3
; %bb.655:                              ;   in Loop: Header=BB18_560 Depth=2
	s_or_b64 exec, exec, s[16:17]
	v_add_u32_e32 v3, 0xffffff81, v23
	v_cndmask_b32_e32 v3, v3, v50, vcc
	v_lshrrev_b32_e32 v11, 23, v2
	v_add3_u32 v24, v24, v3, v11
	v_add_u32_e32 v22, 6, v24
	v_and_b32_e32 v3, 0xfffff, v21
	v_add_u32_e32 v11, v3, v2
	v_cmp_ne_u32_e32 vcc, 0, v22
                                        ; implicit-def: $vgpr2_vgpr3
                                        ; implicit-def: $vgpr23
	s_and_saveexec_b64 s[2:3], vcc
	s_xor_b64 s[2:3], exec, s[2:3]
; %bb.656:                              ;   in Loop: Header=BB18_560 Depth=2
	v_cmp_lt_u64_e32 vcc, s[50:51], v[11:12]
	v_add_u32_e32 v2, 7, v24
	v_cndmask_b32_e32 v23, v22, v2, vcc
	v_cndmask_b32_e64 v2, 0, 1, vcc
	v_lshrrev_b64 v[2:3], v2, v[11:12]
; %bb.657:                              ;   in Loop: Header=BB18_560 Depth=2
	s_andn2_saveexec_b64 s[2:3], s[2:3]
; %bb.658:                              ;   in Loop: Header=BB18_560 Depth=2
	v_mov_b32_e32 v2, v11
	v_bfe_u32 v23, v11, 23, 1
	v_mov_b32_e32 v3, v12
; %bb.659:                              ;   in Loop: Header=BB18_560 Depth=2
	s_or_b64 exec, exec, s[2:3]
	v_lshrrev_b64 v[2:3], 20, v[2:3]
	v_cmp_gt_i32_e32 vcc, 16, v23
	v_cndmask_b32_e32 v22, 0, v3, vcc
	v_cndmask_b32_e32 v21, 7, v2, vcc
	v_cmp_ne_u64_e32 vcc, 0, v[21:22]
	v_cmp_ne_u32_e64 s[2:3], 0, v23
	s_or_b64 s[2:3], s[2:3], vcc
	v_mov_b32_e32 v2, v20
	v_mov_b32_e32 v3, v21
	s_and_saveexec_b64 s[16:17], s[2:3]
	s_xor_b64 s[2:3], exec, s[16:17]
; %bb.660:                              ;   in Loop: Header=BB18_560 Depth=2
	v_min_i32_e32 v2, 15, v23
	v_lshl_or_b32 v2, v2, 3, v20
	v_and_or_b32 v2, v21, 7, v2
; %bb.661:                              ;   in Loop: Header=BB18_560 Depth=2
	s_andn2_saveexec_b64 s[2:3], s[2:3]
	s_or_b64 exec, exec, s[2:3]
.LBB18_662:                             ;   in Loop: Header=BB18_560 Depth=2
	s_or_b64 exec, exec, s[14:15]
                                        ; implicit-def: $vgpr20
.LBB18_663:                             ;   in Loop: Header=BB18_560 Depth=2
	s_andn2_saveexec_b64 s[2:3], s[12:13]
; %bb.664:                              ;   in Loop: Header=BB18_560 Depth=2
	v_or_b32_e32 v2, 0x7e, v20
; %bb.665:                              ;   in Loop: Header=BB18_560 Depth=2
	s_or_b64 exec, exec, s[2:3]
                                        ; implicit-def: $vgpr21
.LBB18_666:                             ;   in Loop: Header=BB18_560 Depth=2
	s_andn2_saveexec_b64 s[2:3], s[10:11]
; %bb.667:                              ;   in Loop: Header=BB18_560 Depth=2
	v_or_b32_sdwa v2, v21, s91 dst_sel:DWORD dst_unused:UNUSED_PAD src0_sel:BYTE_3 src1_sel:DWORD
; %bb.668:                              ;   in Loop: Header=BB18_560 Depth=2
	s_or_b64 exec, exec, s[2:3]
	v_cvt_f32_f16_e32 v3, v4
	v_div_scale_f32 v11, s[2:3], s33, s33, v3
	v_div_scale_f32 v20, vcc, v3, s33, v3
	v_rcp_f32_e32 v21, v11
	v_fma_f32 v22, -v11, v21, 1.0
	v_fmac_f32_e32 v21, v22, v21
	v_mul_f32_e32 v22, v20, v21
	v_fma_f32 v23, -v11, v22, v20
	v_fmac_f32_e32 v22, v23, v21
	v_fma_f32 v11, -v11, v22, v20
	v_div_fmas_f32 v11, v11, v21, v22
                                        ; implicit-def: $vgpr20_vgpr21
	v_div_fixup_f32 v3, v11, s33, v3
	v_cvt_f16_f32_e32 v3, v3
	v_cvt_f32_f16_e32 v22, v3
	v_and_b32_e32 v11, 0x7f800000, v22
	v_cmp_ne_u64_e32 vcc, s[46:47], v[11:12]
	s_and_saveexec_b64 s[2:3], vcc
	s_xor_b64 s[10:11], exec, s[2:3]
	s_cbranch_execz .LBB18_684
; %bb.669:                              ;   in Loop: Header=BB18_560 Depth=2
	v_and_b32_e32 v11, 0x7fffffff, v22
	v_cmp_gt_u64_e32 vcc, s[48:49], v[11:12]
	v_and_b32_sdwa v3, v22, s87 dst_sel:DWORD dst_unused:UNUSED_PAD src0_sel:BYTE_3 src1_sel:DWORD
                                        ; implicit-def: $vgpr20_vgpr21
	s_and_saveexec_b64 s[2:3], vcc
	s_xor_b64 s[12:13], exec, s[2:3]
	s_cbranch_execz .LBB18_681
; %bb.670:                              ;   in Loop: Header=BB18_560 Depth=2
	v_mov_b32_e32 v20, 0
	v_cmp_ne_u32_e32 vcc, 0, v22
	v_mov_b32_e32 v21, 0
	s_and_saveexec_b64 s[14:15], vcc
	s_cbranch_execz .LBB18_680
; %bb.671:                              ;   in Loop: Header=BB18_560 Depth=2
	v_bfe_u32 v23, v22, 23, 8
	v_sub_u32_e32 v20, 0x79, v23
	v_cmp_gt_u32_e32 vcc, s88, v23
	v_cndmask_b32_e32 v20, 0, v20, vcc
	v_cmp_eq_u32_e32 vcc, 0, v23
	v_cndmask_b32_e32 v24, v20, v49, vcc
	v_and_b32_e32 v11, 0x7fffff, v22
	v_add_u32_e32 v20, 20, v24
	v_or_b32_e32 v22, 0x800000, v11
	v_lshlrev_b64 v[20:21], v20, -1
	v_cndmask_b32_e32 v11, v22, v11, vcc
	v_bfi_b32 v26, v20, 0, v11
	v_add_u32_e32 v20, 19, v24
	v_bfi_b32 v27, v21, 0, 0
	v_lshlrev_b64 v[28:29], v20, 1
	v_lshrrev_b64 v[20:21], v24, v[11:12]
	v_cmp_eq_u64_e64 s[2:3], v[26:27], v[28:29]
	v_mov_b32_e32 v22, v21
	v_mov_b32_e32 v21, v20
	s_and_saveexec_b64 s[16:17], s[2:3]
; %bb.672:                              ;   in Loop: Header=BB18_560 Depth=2
	v_bfe_u32 v11, v20, 20, 1
	v_add_co_u32_e64 v11, s[2:3], v20, v11
	v_add_co_u32_e64 v21, s[2:3], -1, v11
; %bb.673:                              ;   in Loop: Header=BB18_560 Depth=2
	s_or_b64 exec, exec, s[16:17]
	v_add_u32_e32 v11, 0xffffff81, v23
	v_cndmask_b32_e32 v11, v11, v50, vcc
	v_lshrrev_b32_e32 v22, 23, v20
	v_add3_u32 v23, v24, v11, v22
	v_add_u32_e32 v22, 6, v23
	v_and_b32_e32 v11, 0xfffff, v21
	v_add_u32_e32 v11, v11, v20
	v_cmp_ne_u32_e32 vcc, 0, v22
                                        ; implicit-def: $vgpr20_vgpr21
                                        ; implicit-def: $vgpr24
	s_and_saveexec_b64 s[2:3], vcc
	s_xor_b64 s[2:3], exec, s[2:3]
; %bb.674:                              ;   in Loop: Header=BB18_560 Depth=2
	v_cmp_lt_u64_e32 vcc, s[50:51], v[11:12]
	v_add_u32_e32 v20, 7, v23
	v_cndmask_b32_e32 v24, v22, v20, vcc
	v_cndmask_b32_e64 v20, 0, 1, vcc
	v_lshrrev_b64 v[20:21], v20, v[11:12]
; %bb.675:                              ;   in Loop: Header=BB18_560 Depth=2
	s_andn2_saveexec_b64 s[2:3], s[2:3]
; %bb.676:                              ;   in Loop: Header=BB18_560 Depth=2
	v_mov_b32_e32 v21, v12
	v_bfe_u32 v24, v11, 23, 1
	v_mov_b32_e32 v20, v11
; %bb.677:                              ;   in Loop: Header=BB18_560 Depth=2
	s_or_b64 exec, exec, s[2:3]
	v_lshrrev_b64 v[20:21], 20, v[20:21]
	v_cmp_gt_i32_e32 vcc, 16, v24
	v_cndmask_b32_e32 v23, 0, v21, vcc
	v_cndmask_b32_e32 v22, 7, v20, vcc
	v_cmp_ne_u64_e32 vcc, 0, v[22:23]
	v_cmp_ne_u32_e64 s[2:3], 0, v24
	v_mov_b32_e32 v21, v4
	s_or_b64 s[2:3], s[2:3], vcc
	v_mov_b32_e32 v20, v3
	s_and_saveexec_b64 s[16:17], s[2:3]
	s_xor_b64 s[2:3], exec, s[16:17]
; %bb.678:                              ;   in Loop: Header=BB18_560 Depth=2
	v_min_i32_e32 v11, 15, v24
	v_lshl_or_b32 v3, v11, 3, v3
	v_and_or_b32 v20, v22, 7, v3
; %bb.679:                              ;   in Loop: Header=BB18_560 Depth=2
	s_andn2_saveexec_b64 s[2:3], s[2:3]
	s_or_b64 exec, exec, s[2:3]
.LBB18_680:                             ;   in Loop: Header=BB18_560 Depth=2
	s_or_b64 exec, exec, s[14:15]
                                        ; implicit-def: $vgpr3
.LBB18_681:                             ;   in Loop: Header=BB18_560 Depth=2
	s_andn2_saveexec_b64 s[2:3], s[12:13]
; %bb.682:                              ;   in Loop: Header=BB18_560 Depth=2
	v_or_b32_e32 v20, 0x7e, v3
; %bb.683:                              ;   in Loop: Header=BB18_560 Depth=2
	s_or_b64 exec, exec, s[2:3]
                                        ; implicit-def: $vgpr22
.LBB18_684:                             ;   in Loop: Header=BB18_560 Depth=2
	s_andn2_saveexec_b64 s[2:3], s[10:11]
; %bb.685:                              ;   in Loop: Header=BB18_560 Depth=2
	v_or_b32_sdwa v20, v22, s91 dst_sel:DWORD dst_unused:UNUSED_PAD src0_sel:BYTE_3 src1_sel:DWORD
; %bb.686:                              ;   in Loop: Header=BB18_560 Depth=2
	s_or_b64 exec, exec, s[2:3]
	v_cvt_f32_f16_sdwa v3, v4 dst_sel:DWORD dst_unused:UNUSED_PAD src0_sel:WORD_1
	v_div_scale_f32 v4, s[2:3], s33, s33, v3
	v_div_scale_f32 v11, vcc, v3, s33, v3
	v_rcp_f32_e32 v21, v4
	v_fma_f32 v22, -v4, v21, 1.0
	v_fmac_f32_e32 v21, v22, v21
	v_mul_f32_e32 v22, v11, v21
	v_fma_f32 v23, -v4, v22, v11
	v_fmac_f32_e32 v22, v23, v21
	v_fma_f32 v4, -v4, v22, v11
	v_div_fmas_f32 v4, v4, v21, v22
                                        ; implicit-def: $vgpr21_vgpr22
	v_div_fixup_f32 v3, v4, s33, v3
	v_cvt_f16_f32_e32 v3, v3
	v_cvt_f32_f16_e32 v4, v3
	v_and_b32_e32 v11, 0x7f800000, v4
	v_cmp_ne_u64_e32 vcc, s[46:47], v[11:12]
	s_and_saveexec_b64 s[2:3], vcc
	s_xor_b64 s[10:11], exec, s[2:3]
	s_cbranch_execz .LBB18_702
; %bb.687:                              ;   in Loop: Header=BB18_560 Depth=2
	v_and_b32_e32 v11, 0x7fffffff, v4
	v_cmp_gt_u64_e32 vcc, s[48:49], v[11:12]
	v_and_b32_sdwa v3, v4, s87 dst_sel:DWORD dst_unused:UNUSED_PAD src0_sel:BYTE_3 src1_sel:DWORD
                                        ; implicit-def: $vgpr21_vgpr22
	s_and_saveexec_b64 s[2:3], vcc
	s_xor_b64 s[12:13], exec, s[2:3]
	s_cbranch_execz .LBB18_699
; %bb.688:                              ;   in Loop: Header=BB18_560 Depth=2
	v_mov_b32_e32 v21, 0
	v_cmp_ne_u32_e32 vcc, 0, v4
	v_mov_b32_e32 v22, 0
	s_and_saveexec_b64 s[14:15], vcc
	s_cbranch_execz .LBB18_698
; %bb.689:                              ;   in Loop: Header=BB18_560 Depth=2
	v_and_b32_e32 v11, 0x7fffff, v4
	v_bfe_u32 v4, v4, 23, 8
	v_sub_u32_e32 v21, 0x79, v4
	v_cmp_gt_u32_e32 vcc, s88, v4
	v_cndmask_b32_e32 v21, 0, v21, vcc
	v_cmp_eq_u32_e32 vcc, 0, v4
	v_cndmask_b32_e32 v24, v21, v49, vcc
	v_add_u32_e32 v21, 20, v24
	v_or_b32_e32 v23, 0x800000, v11
	v_lshlrev_b64 v[21:22], v21, -1
	v_cndmask_b32_e32 v11, v23, v11, vcc
	v_bfi_b32 v26, v21, 0, v11
	v_add_u32_e32 v21, 19, v24
	v_bfi_b32 v27, v22, 0, 0
	v_lshlrev_b64 v[28:29], v21, 1
	v_lshrrev_b64 v[21:22], v24, v[11:12]
	v_cmp_eq_u64_e64 s[2:3], v[26:27], v[28:29]
	v_mov_b32_e32 v23, v22
	v_mov_b32_e32 v22, v21
	s_and_saveexec_b64 s[16:17], s[2:3]
; %bb.690:                              ;   in Loop: Header=BB18_560 Depth=2
	v_bfe_u32 v11, v21, 20, 1
	v_add_co_u32_e64 v11, s[2:3], v21, v11
	v_add_co_u32_e64 v22, s[2:3], -1, v11
; %bb.691:                              ;   in Loop: Header=BB18_560 Depth=2
	s_or_b64 exec, exec, s[16:17]
	v_add_u32_e32 v4, 0xffffff81, v4
	v_cndmask_b32_e32 v4, v4, v50, vcc
	v_lshrrev_b32_e32 v11, 23, v21
	v_add3_u32 v24, v24, v4, v11
	v_add_u32_e32 v23, 6, v24
	v_and_b32_e32 v4, 0xfffff, v22
	v_add_u32_e32 v11, v4, v21
	v_cmp_ne_u32_e32 vcc, 0, v23
                                        ; implicit-def: $vgpr21_vgpr22
                                        ; implicit-def: $vgpr4
	s_and_saveexec_b64 s[2:3], vcc
	s_xor_b64 s[2:3], exec, s[2:3]
; %bb.692:                              ;   in Loop: Header=BB18_560 Depth=2
	v_cmp_lt_u64_e32 vcc, s[50:51], v[11:12]
	v_add_u32_e32 v4, 7, v24
	v_cndmask_b32_e64 v21, 0, 1, vcc
	v_lshrrev_b64 v[21:22], v21, v[11:12]
	v_cndmask_b32_e32 v4, v23, v4, vcc
; %bb.693:                              ;   in Loop: Header=BB18_560 Depth=2
	s_andn2_saveexec_b64 s[2:3], s[2:3]
; %bb.694:                              ;   in Loop: Header=BB18_560 Depth=2
	v_mov_b32_e32 v22, v12
	v_bfe_u32 v4, v11, 23, 1
	v_mov_b32_e32 v21, v11
; %bb.695:                              ;   in Loop: Header=BB18_560 Depth=2
	s_or_b64 exec, exec, s[2:3]
	v_lshrrev_b64 v[21:22], 20, v[21:22]
	v_cmp_gt_i32_e32 vcc, 16, v4
	v_cndmask_b32_e32 v24, 0, v22, vcc
	v_cndmask_b32_e32 v23, 7, v21, vcc
	v_cmp_ne_u64_e32 vcc, 0, v[23:24]
	v_cmp_ne_u32_e64 s[2:3], 0, v4
	v_mov_b32_e32 v22, v4
	s_or_b64 s[2:3], s[2:3], vcc
	v_mov_b32_e32 v21, v3
	s_and_saveexec_b64 s[16:17], s[2:3]
	s_xor_b64 s[2:3], exec, s[16:17]
; %bb.696:                              ;   in Loop: Header=BB18_560 Depth=2
	v_min_i32_e32 v4, 15, v4
	v_lshl_or_b32 v3, v4, 3, v3
	v_and_or_b32 v21, v23, 7, v3
; %bb.697:                              ;   in Loop: Header=BB18_560 Depth=2
	s_andn2_saveexec_b64 s[2:3], s[2:3]
	s_or_b64 exec, exec, s[2:3]
.LBB18_698:                             ;   in Loop: Header=BB18_560 Depth=2
	s_or_b64 exec, exec, s[14:15]
                                        ; implicit-def: $vgpr3
.LBB18_699:                             ;   in Loop: Header=BB18_560 Depth=2
	s_andn2_saveexec_b64 s[2:3], s[12:13]
; %bb.700:                              ;   in Loop: Header=BB18_560 Depth=2
	v_or_b32_e32 v21, 0x7e, v3
; %bb.701:                              ;   in Loop: Header=BB18_560 Depth=2
	s_or_b64 exec, exec, s[2:3]
                                        ; implicit-def: $vgpr4
.LBB18_702:                             ;   in Loop: Header=BB18_560 Depth=2
	s_andn2_saveexec_b64 s[2:3], s[10:11]
	s_cbranch_execz .LBB18_559
; %bb.703:                              ;   in Loop: Header=BB18_560 Depth=2
	v_or_b32_sdwa v21, v4, s91 dst_sel:DWORD dst_unused:UNUSED_PAD src0_sel:BYTE_3 src1_sel:DWORD
	s_branch .LBB18_559
.LBB18_704:
	v_readlane_b32 s0, v63, 1
	v_readlane_b32 s1, v63, 2
	s_or_b64 exec, exec, s[0:1]
	s_mov_b64 s[0:1], 0
.LBB18_705:
	s_andn2_b64 vcc, exec, s[0:1]
	s_cbranch_vccnz .LBB18_1404
; %bb.706:
	s_and_b32 s0, s72, 15
	s_mov_b32 s1, 0
	s_mul_i32 s48, s45, s44
	s_cmp_lg_u64 s[0:1], 0
	s_cselect_b64 s[0:1], -1, 0
	s_and_b32 s2, s48, 7
	s_cmp_eq_u32 s2, 0
	s_cselect_b64 s[22:23], -1, 0
	s_cmp_lg_u32 s2, 0
	s_cselect_b64 s[2:3], -1, 0
	s_or_b64 s[2:3], s[0:1], s[2:3]
	s_mov_b64 s[0:1], -1
	s_and_b64 vcc, exec, s[2:3]
	s_cbranch_vccz .LBB18_907
; %bb.707:
	s_sub_i32 s0, 0, s72
	s_bfe_u32 s0, s0, 0x30001
	s_min_i32 s36, s0, s48
	v_cmp_gt_i32_e32 vcc, s36, v0
	s_and_saveexec_b64 s[2:3], vcc
	s_cbranch_execz .LBB18_731
; %bb.708:
	v_mov_b32_e32 v2, 0
	s_add_u32 s0, s24, s42
	v_mov_b32_e32 v1, v2
	v_lshlrev_b32_e32 v3, 1, v0
	s_addc_u32 s1, s25, s43
	v_mov_b32_e32 v4, s1
	v_add_co_u32_e32 v3, vcc, s0, v3
	v_mov_b32_e32 v6, v1
	v_addc_co_u32_e32 v4, vcc, 0, v4, vcc
	s_lshl_b32 s20, s62, 1
	s_mov_b64 s[4:5], 0
	s_mov_b64 s[6:7], 0x7f800000
	s_movk_i32 s21, 0x80
	s_mov_b64 s[8:9], 0x43e00001
	s_movk_i32 s37, 0x7a
	;; [unrolled: 2-line block ×3, first 2 shown]
	v_mov_b32_e32 v10, 0x78
	v_mov_b32_e32 v11, 0xffffff82
	v_mov_b32_e32 v5, v0
	s_branch .LBB18_710
.LBB18_709:                             ;   in Loop: Header=BB18_710 Depth=1
	s_or_b64 exec, exec, s[0:1]
	v_mov_b32_e32 v8, s75
	v_add_co_u32_e32 v7, vcc, s74, v5
	v_addc_co_u32_e32 v8, vcc, v8, v6, vcc
	v_add_co_u32_e32 v5, vcc, s62, v5
	v_addc_co_u32_e32 v6, vcc, 0, v6, vcc
	v_cmp_le_i32_e32 vcc, s36, v5
	s_or_b64 s[4:5], vcc, s[4:5]
	v_add_co_u32_e32 v3, vcc, s20, v3
	v_addc_co_u32_e32 v4, vcc, 0, v4, vcc
	global_store_byte v[7:8], v1, off
	s_andn2_b64 exec, exec, s[4:5]
	s_cbranch_execz .LBB18_731
.LBB18_710:                             ; =>This Inner Loop Header: Depth=1
	global_load_ushort v1, v[3:4], off
	s_waitcnt vmcnt(0)
	v_cvt_f32_f16_e32 v1, v1
	v_div_scale_f32 v7, s[0:1], s71, s71, v1
	v_div_scale_f32 v8, vcc, v1, s71, v1
	v_rcp_f32_e32 v9, v7
	v_fma_f32 v12, -v7, v9, 1.0
	v_fmac_f32_e32 v9, v12, v9
	v_mul_f32_e32 v12, v8, v9
	v_fma_f32 v13, -v7, v12, v8
	v_fmac_f32_e32 v12, v13, v9
	v_fma_f32 v7, -v7, v12, v8
	v_div_fmas_f32 v7, v7, v9, v12
	v_div_fixup_f32 v1, v7, s71, v1
	v_cvt_f16_f32_e32 v1, v1
	v_cvt_f32_f16_e32 v7, v1
	v_and_b32_e32 v1, 0x7f800000, v7
	v_cmp_ne_u64_e32 vcc, s[6:7], v[1:2]
                                        ; implicit-def: $vgpr1
	s_and_saveexec_b64 s[0:1], vcc
	s_xor_b64 s[12:13], exec, s[0:1]
	s_cbranch_execz .LBB18_728
; %bb.711:                              ;   in Loop: Header=BB18_710 Depth=1
	v_and_b32_e32 v1, 0x7fffffff, v7
	v_cmp_gt_u64_e32 vcc, s[8:9], v[1:2]
	v_and_b32_sdwa v12, v7, s21 dst_sel:DWORD dst_unused:UNUSED_PAD src0_sel:BYTE_3 src1_sel:DWORD
                                        ; implicit-def: $vgpr1
	s_and_saveexec_b64 s[0:1], vcc
	s_xor_b64 s[14:15], exec, s[0:1]
	s_cbranch_execz .LBB18_725
; %bb.712:                              ;   in Loop: Header=BB18_710 Depth=1
	v_cmp_ne_u32_e32 vcc, 0, v7
	v_mov_b32_e32 v1, 0
	s_and_saveexec_b64 s[16:17], vcc
	s_cbranch_execz .LBB18_724
; %bb.713:                              ;   in Loop: Header=BB18_710 Depth=1
	v_bfe_u32 v13, v7, 23, 8
	v_and_b32_e32 v1, 0x7fffff, v7
	v_sub_u32_e32 v7, 0x79, v13
	v_cmp_gt_u32_e32 vcc, s37, v13
	v_cndmask_b32_e32 v7, 0, v7, vcc
	v_cmp_eq_u32_e32 vcc, 0, v13
	v_cndmask_b32_e32 v14, v7, v10, vcc
	v_add_u32_e32 v7, 20, v14
	v_or_b32_e32 v9, 0x800000, v1
	v_lshlrev_b64 v[7:8], v7, -1
	v_cndmask_b32_e32 v1, v9, v1, vcc
	v_bfi_b32 v15, v7, 0, v1
	v_add_u32_e32 v7, 19, v14
	v_bfi_b32 v16, v8, 0, 0
	v_lshlrev_b64 v[17:18], v7, 1
	v_lshrrev_b64 v[7:8], v14, v[1:2]
	v_cmp_eq_u64_e64 s[0:1], v[15:16], v[17:18]
	v_mov_b32_e32 v9, v8
	v_mov_b32_e32 v8, v7
	s_and_saveexec_b64 s[18:19], s[0:1]
; %bb.714:                              ;   in Loop: Header=BB18_710 Depth=1
	v_bfe_u32 v1, v7, 20, 1
	v_add_co_u32_e64 v1, s[0:1], v7, v1
	v_add_co_u32_e64 v8, s[0:1], -1, v1
; %bb.715:                              ;   in Loop: Header=BB18_710 Depth=1
	s_or_b64 exec, exec, s[18:19]
	v_add_u32_e32 v1, 0xffffff81, v13
	v_cndmask_b32_e32 v1, v1, v11, vcc
	v_lshrrev_b32_e32 v9, 23, v7
	v_add3_u32 v14, v14, v1, v9
	v_add_u32_e32 v13, 6, v14
	v_and_b32_e32 v1, 0xfffff, v8
	v_add_u32_e32 v1, v1, v7
	v_cmp_ne_u32_e32 vcc, 0, v13
                                        ; implicit-def: $vgpr7_vgpr8
                                        ; implicit-def: $vgpr9
	s_and_saveexec_b64 s[0:1], vcc
	s_xor_b64 s[0:1], exec, s[0:1]
; %bb.716:                              ;   in Loop: Header=BB18_710 Depth=1
	v_cmp_lt_u64_e32 vcc, s[10:11], v[1:2]
	v_add_u32_e32 v7, 7, v14
	v_cndmask_b32_e32 v9, v13, v7, vcc
	v_cndmask_b32_e64 v7, 0, 1, vcc
	v_lshrrev_b64 v[7:8], v7, v[1:2]
; %bb.717:                              ;   in Loop: Header=BB18_710 Depth=1
	s_andn2_saveexec_b64 s[0:1], s[0:1]
; %bb.718:                              ;   in Loop: Header=BB18_710 Depth=1
	v_mov_b32_e32 v8, v2
	v_bfe_u32 v9, v1, 23, 1
	v_mov_b32_e32 v7, v1
; %bb.719:                              ;   in Loop: Header=BB18_710 Depth=1
	s_or_b64 exec, exec, s[0:1]
	v_lshrrev_b64 v[7:8], 20, v[7:8]
	v_cmp_gt_i32_e32 vcc, 16, v9
	v_cndmask_b32_e32 v8, 0, v8, vcc
	v_cndmask_b32_e32 v7, 7, v7, vcc
	v_cmp_ne_u64_e32 vcc, 0, v[7:8]
	v_cmp_ne_u32_e64 s[0:1], 0, v9
	s_or_b64 s[0:1], s[0:1], vcc
                                        ; implicit-def: $vgpr1
	s_and_saveexec_b64 s[18:19], s[0:1]
	s_xor_b64 s[0:1], exec, s[18:19]
; %bb.720:                              ;   in Loop: Header=BB18_710 Depth=1
	v_min_i32_e32 v1, 15, v9
	v_lshl_or_b32 v1, v1, 3, v12
	v_and_or_b32 v1, v7, 7, v1
                                        ; implicit-def: $vgpr12
; %bb.721:                              ;   in Loop: Header=BB18_710 Depth=1
	s_andn2_saveexec_b64 s[0:1], s[0:1]
; %bb.722:                              ;   in Loop: Header=BB18_710 Depth=1
	v_mov_b32_e32 v1, v12
; %bb.723:                              ;   in Loop: Header=BB18_710 Depth=1
	s_or_b64 exec, exec, s[0:1]
.LBB18_724:                             ;   in Loop: Header=BB18_710 Depth=1
	s_or_b64 exec, exec, s[16:17]
                                        ; implicit-def: $vgpr12
.LBB18_725:                             ;   in Loop: Header=BB18_710 Depth=1
	s_andn2_saveexec_b64 s[0:1], s[14:15]
; %bb.726:                              ;   in Loop: Header=BB18_710 Depth=1
	v_or_b32_e32 v1, 0x7e, v12
; %bb.727:                              ;   in Loop: Header=BB18_710 Depth=1
	s_or_b64 exec, exec, s[0:1]
                                        ; implicit-def: $vgpr7
.LBB18_728:                             ;   in Loop: Header=BB18_710 Depth=1
	s_andn2_saveexec_b64 s[0:1], s[12:13]
	s_cbranch_execz .LBB18_709
; %bb.729:                              ;   in Loop: Header=BB18_710 Depth=1
	v_or_b32_sdwa v1, v7, s38 dst_sel:DWORD dst_unused:UNUSED_PAD src0_sel:BYTE_3 src1_sel:DWORD
	s_branch .LBB18_709
.LBB18_730:
                                        ; implicit-def: $sgpr10_sgpr11
	s_branch .LBB18_3
.LBB18_731:
	s_or_b64 exec, exec, s[2:3]
	s_sub_i32 s49, s48, s36
	s_ashr_i32 s0, s49, 31
	s_lshr_b32 s0, s0, 29
	s_add_i32 s0, s49, s0
	s_ashr_i32 s20, s0, 3
	s_ashr_i32 s37, s36, 31
	v_cmp_gt_i32_e32 vcc, s20, v0
	s_and_saveexec_b64 s[2:3], vcc
	s_cbranch_execz .LBB18_878
; %bb.732:
	s_add_u32 s0, s36, s64
	s_addc_u32 s1, s37, s63
	s_add_u32 s0, s0, s66
	s_addc_u32 s1, s1, s65
	s_add_u32 s0, s28, s0
	v_lshlrev_b32_e32 v1, 3, v0
	s_addc_u32 s1, s29, s1
	v_mov_b32_e32 v2, s1
	v_add_co_u32_e32 v7, vcc, s0, v1
	s_lshl_b32 s21, s62, 3
	s_lshl_b64 s[0:1], s[36:37], 1
	s_add_u32 s0, s24, s0
	s_addc_u32 s1, s25, s1
	s_add_u32 s0, s0, s42
	v_addc_co_u32_e32 v8, vcc, 0, v2, vcc
	v_lshlrev_b32_e32 v1, 4, v0
	s_addc_u32 s1, s1, s43
	v_mov_b32_e32 v2, s1
	v_add_co_u32_e32 v9, vcc, s0, v1
	v_mov_b32_e32 v6, 0
	v_addc_co_u32_e32 v10, vcc, 0, v2, vcc
	s_lshl_b32 s38, s62, 4
	s_mov_b64 s[4:5], 0
	s_mov_b64 s[6:7], 0x7f800000
	s_movk_i32 s39, 0x80
	s_mov_b64 s[8:9], 0x43e00001
	s_movk_i32 s40, 0x7a
	;; [unrolled: 2-line block ×3, first 2 shown]
	s_mov_b32 s44, 0xff00
	s_mov_b32 s45, 0x4020c0c
	v_mov_b32_e32 v19, 0x78
	v_mov_b32_e32 v20, 0xffffff82
	;; [unrolled: 1-line block ×3, first 2 shown]
	s_branch .LBB18_734
.LBB18_733:                             ;   in Loop: Header=BB18_734 Depth=1
	s_or_b64 exec, exec, s[0:1]
	v_lshlrev_b32_e32 v3, 24, v4
	v_lshlrev_b32_e32 v4, 16, v15
	v_and_b32_e32 v4, 0xff0000, v4
	v_lshlrev_b32_e32 v2, 8, v2
	v_or_b32_e32 v3, v3, v4
	v_and_b32_e32 v2, 0xff00, v2
	v_and_b32_e32 v4, 0xff, v14
	v_or3_b32 v2, v3, v2, v4
	v_lshlrev_b32_e32 v3, 16, v13
	v_lshlrev_b32_e32 v4, 8, v12
	v_perm_b32 v1, v1, v3, s45
	v_and_or_b32 v1, v4, s44, v1
	v_or_b32_sdwa v1, v1, v11 dst_sel:DWORD dst_unused:UNUSED_PAD src0_sel:DWORD src1_sel:BYTE_0
	global_store_dwordx2 v[7:8], v[1:2], off
	v_add_co_u32_e32 v7, vcc, s21, v7
	v_add_u32_e32 v21, s62, v21
	v_addc_co_u32_e32 v8, vcc, 0, v8, vcc
	v_cmp_le_i32_e32 vcc, s20, v21
	s_or_b64 s[4:5], vcc, s[4:5]
	v_add_co_u32_e32 v9, vcc, s38, v9
	v_addc_co_u32_e32 v10, vcc, 0, v10, vcc
	s_andn2_b64 exec, exec, s[4:5]
	s_cbranch_execz .LBB18_878
.LBB18_734:                             ; =>This Inner Loop Header: Depth=1
	global_load_dwordx4 v[1:4], v[9:10], off
	s_waitcnt vmcnt(0)
	v_cvt_f32_f16_e32 v5, v1
	v_div_scale_f32 v11, s[0:1], s71, s71, v5
	v_div_scale_f32 v12, vcc, v5, s71, v5
	v_rcp_f32_e32 v13, v11
	v_fma_f32 v14, -v11, v13, 1.0
	v_fmac_f32_e32 v13, v14, v13
	v_mul_f32_e32 v14, v12, v13
	v_fma_f32 v15, -v11, v14, v12
	v_fmac_f32_e32 v14, v15, v13
	v_fma_f32 v11, -v11, v14, v12
	v_div_fmas_f32 v11, v11, v13, v14
	v_div_fixup_f32 v5, v11, s71, v5
	v_cvt_f16_f32_e32 v5, v5
                                        ; implicit-def: $vgpr11_vgpr12
	v_cvt_f32_f16_e32 v14, v5
	v_and_b32_e32 v5, 0x7f800000, v14
	v_cmp_ne_u64_e32 vcc, s[6:7], v[5:6]
	s_and_saveexec_b64 s[0:1], vcc
	s_xor_b64 s[12:13], exec, s[0:1]
	s_cbranch_execz .LBB18_750
; %bb.735:                              ;   in Loop: Header=BB18_734 Depth=1
	v_and_b32_e32 v5, 0x7fffffff, v14
	v_cmp_gt_u64_e32 vcc, s[8:9], v[5:6]
	v_and_b32_sdwa v13, v14, s39 dst_sel:DWORD dst_unused:UNUSED_PAD src0_sel:BYTE_3 src1_sel:DWORD
                                        ; implicit-def: $vgpr11_vgpr12
	s_and_saveexec_b64 s[0:1], vcc
	s_xor_b64 s[14:15], exec, s[0:1]
	s_cbranch_execz .LBB18_747
; %bb.736:                              ;   in Loop: Header=BB18_734 Depth=1
	v_mov_b32_e32 v11, 0
	v_cmp_ne_u32_e32 vcc, 0, v14
	v_mov_b32_e32 v12, 0
	s_and_saveexec_b64 s[16:17], vcc
	s_cbranch_execz .LBB18_746
; %bb.737:                              ;   in Loop: Header=BB18_734 Depth=1
	v_bfe_u32 v16, v14, 23, 8
	v_sub_u32_e32 v11, 0x79, v16
	v_cmp_gt_u32_e32 vcc, s40, v16
	v_cndmask_b32_e32 v11, 0, v11, vcc
	v_cmp_eq_u32_e32 vcc, 0, v16
	v_cndmask_b32_e32 v17, v11, v19, vcc
	v_and_b32_e32 v5, 0x7fffff, v14
	v_add_u32_e32 v11, 20, v17
	v_or_b32_e32 v14, 0x800000, v5
	v_lshlrev_b64 v[11:12], v11, -1
	v_cndmask_b32_e32 v5, v14, v5, vcc
	v_bfi_b32 v14, v11, 0, v5
	v_add_u32_e32 v11, 19, v17
	v_bfi_b32 v15, v12, 0, 0
	v_lshlrev_b64 v[22:23], v11, 1
	v_lshrrev_b64 v[11:12], v17, v[5:6]
	v_cmp_eq_u64_e64 s[0:1], v[14:15], v[22:23]
	v_mov_b32_e32 v15, v12
	v_mov_b32_e32 v14, v11
	s_and_saveexec_b64 s[18:19], s[0:1]
; %bb.738:                              ;   in Loop: Header=BB18_734 Depth=1
	v_bfe_u32 v5, v11, 20, 1
	v_add_co_u32_e64 v5, s[0:1], v11, v5
	v_add_co_u32_e64 v14, s[0:1], -1, v5
; %bb.739:                              ;   in Loop: Header=BB18_734 Depth=1
	s_or_b64 exec, exec, s[18:19]
	v_add_u32_e32 v5, 0xffffff81, v16
	v_cndmask_b32_e32 v5, v5, v20, vcc
	v_lshrrev_b32_e32 v12, 23, v11
	v_add3_u32 v17, v17, v5, v12
	v_add_u32_e32 v15, 6, v17
	v_and_b32_e32 v5, 0xfffff, v14
	v_add_u32_e32 v5, v5, v11
	v_cmp_ne_u32_e32 vcc, 0, v15
                                        ; implicit-def: $vgpr11_vgpr12
                                        ; implicit-def: $vgpr16
	s_and_saveexec_b64 s[0:1], vcc
	s_xor_b64 s[0:1], exec, s[0:1]
; %bb.740:                              ;   in Loop: Header=BB18_734 Depth=1
	v_cmp_lt_u64_e32 vcc, s[10:11], v[5:6]
	v_add_u32_e32 v11, 7, v17
	v_cndmask_b32_e32 v16, v15, v11, vcc
	v_cndmask_b32_e64 v11, 0, 1, vcc
	v_lshrrev_b64 v[11:12], v11, v[5:6]
; %bb.741:                              ;   in Loop: Header=BB18_734 Depth=1
	s_andn2_saveexec_b64 s[0:1], s[0:1]
; %bb.742:                              ;   in Loop: Header=BB18_734 Depth=1
	v_mov_b32_e32 v12, v6
	v_bfe_u32 v16, v5, 23, 1
	v_mov_b32_e32 v11, v5
; %bb.743:                              ;   in Loop: Header=BB18_734 Depth=1
	s_or_b64 exec, exec, s[0:1]
	v_lshrrev_b64 v[11:12], 20, v[11:12]
	v_cmp_gt_i32_e32 vcc, 16, v16
	v_cndmask_b32_e32 v15, 0, v12, vcc
	v_cndmask_b32_e32 v14, 7, v11, vcc
	v_cmp_ne_u64_e32 vcc, 0, v[14:15]
	v_cmp_ne_u32_e64 s[0:1], 0, v16
	s_or_b64 s[0:1], s[0:1], vcc
	v_mov_b32_e32 v11, v13
	v_mov_b32_e32 v12, v14
	s_and_saveexec_b64 s[18:19], s[0:1]
	s_xor_b64 s[0:1], exec, s[18:19]
; %bb.744:                              ;   in Loop: Header=BB18_734 Depth=1
	v_min_i32_e32 v5, 15, v16
	v_lshl_or_b32 v5, v5, 3, v13
	v_and_or_b32 v11, v14, 7, v5
; %bb.745:                              ;   in Loop: Header=BB18_734 Depth=1
	s_andn2_saveexec_b64 s[0:1], s[0:1]
	s_or_b64 exec, exec, s[0:1]
.LBB18_746:                             ;   in Loop: Header=BB18_734 Depth=1
	s_or_b64 exec, exec, s[16:17]
                                        ; implicit-def: $vgpr13
.LBB18_747:                             ;   in Loop: Header=BB18_734 Depth=1
	s_andn2_saveexec_b64 s[0:1], s[14:15]
; %bb.748:                              ;   in Loop: Header=BB18_734 Depth=1
	v_or_b32_e32 v11, 0x7e, v13
; %bb.749:                              ;   in Loop: Header=BB18_734 Depth=1
	s_or_b64 exec, exec, s[0:1]
                                        ; implicit-def: $vgpr14
.LBB18_750:                             ;   in Loop: Header=BB18_734 Depth=1
	s_andn2_saveexec_b64 s[0:1], s[12:13]
; %bb.751:                              ;   in Loop: Header=BB18_734 Depth=1
	v_or_b32_sdwa v11, v14, s41 dst_sel:DWORD dst_unused:UNUSED_PAD src0_sel:BYTE_3 src1_sel:DWORD
; %bb.752:                              ;   in Loop: Header=BB18_734 Depth=1
	s_or_b64 exec, exec, s[0:1]
	v_cvt_f32_f16_sdwa v1, v1 dst_sel:DWORD dst_unused:UNUSED_PAD src0_sel:WORD_1
	v_div_scale_f32 v5, s[0:1], s71, s71, v1
	v_div_scale_f32 v12, vcc, v1, s71, v1
	v_rcp_f32_e32 v13, v5
	v_fma_f32 v14, -v5, v13, 1.0
	v_fmac_f32_e32 v13, v14, v13
	v_mul_f32_e32 v14, v12, v13
	v_fma_f32 v15, -v5, v14, v12
	v_fmac_f32_e32 v14, v15, v13
	v_fma_f32 v5, -v5, v14, v12
	v_div_fmas_f32 v5, v5, v13, v14
                                        ; implicit-def: $vgpr12_vgpr13
	v_div_fixup_f32 v1, v5, s71, v1
	v_cvt_f16_f32_e32 v1, v1
	v_cvt_f32_f16_e32 v14, v1
	v_and_b32_e32 v5, 0x7f800000, v14
	v_cmp_ne_u64_e32 vcc, s[6:7], v[5:6]
	s_and_saveexec_b64 s[0:1], vcc
	s_xor_b64 s[12:13], exec, s[0:1]
	s_cbranch_execz .LBB18_768
; %bb.753:                              ;   in Loop: Header=BB18_734 Depth=1
	v_and_b32_e32 v5, 0x7fffffff, v14
	v_cmp_gt_u64_e32 vcc, s[8:9], v[5:6]
	v_and_b32_sdwa v1, v14, s39 dst_sel:DWORD dst_unused:UNUSED_PAD src0_sel:BYTE_3 src1_sel:DWORD
                                        ; implicit-def: $vgpr12_vgpr13
	s_and_saveexec_b64 s[0:1], vcc
	s_xor_b64 s[14:15], exec, s[0:1]
	s_cbranch_execz .LBB18_765
; %bb.754:                              ;   in Loop: Header=BB18_734 Depth=1
	v_mov_b32_e32 v12, 0
	v_cmp_ne_u32_e32 vcc, 0, v14
	v_mov_b32_e32 v13, 0
	s_and_saveexec_b64 s[16:17], vcc
	s_cbranch_execz .LBB18_764
; %bb.755:                              ;   in Loop: Header=BB18_734 Depth=1
	v_bfe_u32 v15, v14, 23, 8
	v_sub_u32_e32 v12, 0x79, v15
	v_cmp_gt_u32_e32 vcc, s40, v15
	v_cndmask_b32_e32 v12, 0, v12, vcc
	v_cmp_eq_u32_e32 vcc, 0, v15
	v_cndmask_b32_e32 v16, v12, v19, vcc
	v_and_b32_e32 v5, 0x7fffff, v14
	v_add_u32_e32 v12, 20, v16
	v_or_b32_e32 v14, 0x800000, v5
	v_lshlrev_b64 v[12:13], v12, -1
	v_cndmask_b32_e32 v5, v14, v5, vcc
	v_bfi_b32 v17, v12, 0, v5
	v_add_u32_e32 v12, 19, v16
	v_bfi_b32 v18, v13, 0, 0
	v_lshlrev_b64 v[22:23], v12, 1
	v_lshrrev_b64 v[12:13], v16, v[5:6]
	v_cmp_eq_u64_e64 s[0:1], v[17:18], v[22:23]
	v_mov_b32_e32 v14, v13
	v_mov_b32_e32 v13, v12
	s_and_saveexec_b64 s[18:19], s[0:1]
; %bb.756:                              ;   in Loop: Header=BB18_734 Depth=1
	v_bfe_u32 v5, v12, 20, 1
	v_add_co_u32_e64 v5, s[0:1], v12, v5
	v_add_co_u32_e64 v13, s[0:1], -1, v5
; %bb.757:                              ;   in Loop: Header=BB18_734 Depth=1
	s_or_b64 exec, exec, s[18:19]
	v_add_u32_e32 v5, 0xffffff81, v15
	v_cndmask_b32_e32 v5, v5, v20, vcc
	v_lshrrev_b32_e32 v14, 23, v12
	v_add3_u32 v15, v16, v5, v14
	v_add_u32_e32 v14, 6, v15
	v_and_b32_e32 v5, 0xfffff, v13
	v_add_u32_e32 v5, v5, v12
	v_cmp_ne_u32_e32 vcc, 0, v14
                                        ; implicit-def: $vgpr12_vgpr13
                                        ; implicit-def: $vgpr16
	s_and_saveexec_b64 s[0:1], vcc
	s_xor_b64 s[0:1], exec, s[0:1]
; %bb.758:                              ;   in Loop: Header=BB18_734 Depth=1
	v_cmp_lt_u64_e32 vcc, s[10:11], v[5:6]
	v_add_u32_e32 v12, 7, v15
	v_cndmask_b32_e32 v16, v14, v12, vcc
	v_cndmask_b32_e64 v12, 0, 1, vcc
	v_lshrrev_b64 v[12:13], v12, v[5:6]
; %bb.759:                              ;   in Loop: Header=BB18_734 Depth=1
	s_andn2_saveexec_b64 s[0:1], s[0:1]
; %bb.760:                              ;   in Loop: Header=BB18_734 Depth=1
	v_mov_b32_e32 v13, v6
	v_bfe_u32 v16, v5, 23, 1
	v_mov_b32_e32 v12, v5
; %bb.761:                              ;   in Loop: Header=BB18_734 Depth=1
	s_or_b64 exec, exec, s[0:1]
	v_lshrrev_b64 v[12:13], 20, v[12:13]
	v_cmp_gt_i32_e32 vcc, 16, v16
	v_cndmask_b32_e32 v15, 0, v13, vcc
	v_cndmask_b32_e32 v14, 7, v12, vcc
	v_cmp_ne_u64_e32 vcc, 0, v[14:15]
	v_cmp_ne_u32_e64 s[0:1], 0, v16
	v_mov_b32_e32 v13, v2
	s_or_b64 s[0:1], s[0:1], vcc
	v_mov_b32_e32 v12, v1
	s_and_saveexec_b64 s[18:19], s[0:1]
	s_xor_b64 s[0:1], exec, s[18:19]
; %bb.762:                              ;   in Loop: Header=BB18_734 Depth=1
	v_min_i32_e32 v5, 15, v16
	v_lshl_or_b32 v1, v5, 3, v1
	v_and_or_b32 v12, v14, 7, v1
; %bb.763:                              ;   in Loop: Header=BB18_734 Depth=1
	s_andn2_saveexec_b64 s[0:1], s[0:1]
	s_or_b64 exec, exec, s[0:1]
.LBB18_764:                             ;   in Loop: Header=BB18_734 Depth=1
	s_or_b64 exec, exec, s[16:17]
                                        ; implicit-def: $vgpr1
.LBB18_765:                             ;   in Loop: Header=BB18_734 Depth=1
	s_andn2_saveexec_b64 s[0:1], s[14:15]
; %bb.766:                              ;   in Loop: Header=BB18_734 Depth=1
	v_or_b32_e32 v12, 0x7e, v1
; %bb.767:                              ;   in Loop: Header=BB18_734 Depth=1
	s_or_b64 exec, exec, s[0:1]
                                        ; implicit-def: $vgpr14
.LBB18_768:                             ;   in Loop: Header=BB18_734 Depth=1
	s_andn2_saveexec_b64 s[0:1], s[12:13]
; %bb.769:                              ;   in Loop: Header=BB18_734 Depth=1
	v_or_b32_sdwa v12, v14, s41 dst_sel:DWORD dst_unused:UNUSED_PAD src0_sel:BYTE_3 src1_sel:DWORD
; %bb.770:                              ;   in Loop: Header=BB18_734 Depth=1
	s_or_b64 exec, exec, s[0:1]
	v_cvt_f32_f16_e32 v1, v2
	v_div_scale_f32 v5, s[0:1], s71, s71, v1
	v_div_scale_f32 v13, vcc, v1, s71, v1
	v_rcp_f32_e32 v14, v5
	v_fma_f32 v15, -v5, v14, 1.0
	v_fmac_f32_e32 v14, v15, v14
	v_mul_f32_e32 v15, v13, v14
	v_fma_f32 v16, -v5, v15, v13
	v_fmac_f32_e32 v15, v16, v14
	v_fma_f32 v5, -v5, v15, v13
	v_div_fmas_f32 v5, v5, v14, v15
                                        ; implicit-def: $vgpr13_vgpr14
	v_div_fixup_f32 v1, v5, s71, v1
	v_cvt_f16_f32_e32 v1, v1
	v_cvt_f32_f16_e32 v15, v1
	v_and_b32_e32 v5, 0x7f800000, v15
	v_cmp_ne_u64_e32 vcc, s[6:7], v[5:6]
	s_and_saveexec_b64 s[0:1], vcc
	s_xor_b64 s[12:13], exec, s[0:1]
	s_cbranch_execz .LBB18_786
; %bb.771:                              ;   in Loop: Header=BB18_734 Depth=1
	v_and_b32_e32 v5, 0x7fffffff, v15
	v_cmp_gt_u64_e32 vcc, s[8:9], v[5:6]
	v_and_b32_sdwa v1, v15, s39 dst_sel:DWORD dst_unused:UNUSED_PAD src0_sel:BYTE_3 src1_sel:DWORD
                                        ; implicit-def: $vgpr13_vgpr14
	s_and_saveexec_b64 s[0:1], vcc
	s_xor_b64 s[14:15], exec, s[0:1]
	s_cbranch_execz .LBB18_783
; %bb.772:                              ;   in Loop: Header=BB18_734 Depth=1
	v_mov_b32_e32 v13, 0
	v_cmp_ne_u32_e32 vcc, 0, v15
	v_mov_b32_e32 v14, 0
	s_and_saveexec_b64 s[16:17], vcc
	s_cbranch_execz .LBB18_782
; %bb.773:                              ;   in Loop: Header=BB18_734 Depth=1
	v_bfe_u32 v16, v15, 23, 8
	v_sub_u32_e32 v13, 0x79, v16
	v_cmp_gt_u32_e32 vcc, s40, v16
	v_cndmask_b32_e32 v13, 0, v13, vcc
	v_cmp_eq_u32_e32 vcc, 0, v16
	v_cndmask_b32_e32 v17, v13, v19, vcc
	v_and_b32_e32 v5, 0x7fffff, v15
	v_add_u32_e32 v13, 20, v17
	v_or_b32_e32 v15, 0x800000, v5
	v_lshlrev_b64 v[13:14], v13, -1
	v_cndmask_b32_e32 v5, v15, v5, vcc
	v_bfi_b32 v22, v13, 0, v5
	v_add_u32_e32 v13, 19, v17
	v_bfi_b32 v23, v14, 0, 0
	v_lshlrev_b64 v[24:25], v13, 1
	v_lshrrev_b64 v[13:14], v17, v[5:6]
	v_cmp_eq_u64_e64 s[0:1], v[22:23], v[24:25]
	v_mov_b32_e32 v15, v14
	v_mov_b32_e32 v14, v13
	s_and_saveexec_b64 s[18:19], s[0:1]
; %bb.774:                              ;   in Loop: Header=BB18_734 Depth=1
	v_bfe_u32 v5, v13, 20, 1
	v_add_co_u32_e64 v5, s[0:1], v13, v5
	v_add_co_u32_e64 v14, s[0:1], -1, v5
; %bb.775:                              ;   in Loop: Header=BB18_734 Depth=1
	s_or_b64 exec, exec, s[18:19]
	v_add_u32_e32 v5, 0xffffff81, v16
	v_cndmask_b32_e32 v5, v5, v20, vcc
	v_lshrrev_b32_e32 v15, 23, v13
	v_add3_u32 v16, v17, v5, v15
	v_add_u32_e32 v15, 6, v16
	v_and_b32_e32 v5, 0xfffff, v14
	v_add_u32_e32 v5, v5, v13
	v_cmp_ne_u32_e32 vcc, 0, v15
                                        ; implicit-def: $vgpr13_vgpr14
                                        ; implicit-def: $vgpr17
	s_and_saveexec_b64 s[0:1], vcc
	s_xor_b64 s[0:1], exec, s[0:1]
; %bb.776:                              ;   in Loop: Header=BB18_734 Depth=1
	v_cmp_lt_u64_e32 vcc, s[10:11], v[5:6]
	v_add_u32_e32 v13, 7, v16
	v_cndmask_b32_e32 v17, v15, v13, vcc
	v_cndmask_b32_e64 v13, 0, 1, vcc
	v_lshrrev_b64 v[13:14], v13, v[5:6]
; %bb.777:                              ;   in Loop: Header=BB18_734 Depth=1
	s_andn2_saveexec_b64 s[0:1], s[0:1]
; %bb.778:                              ;   in Loop: Header=BB18_734 Depth=1
	v_mov_b32_e32 v14, v6
	v_bfe_u32 v17, v5, 23, 1
	v_mov_b32_e32 v13, v5
; %bb.779:                              ;   in Loop: Header=BB18_734 Depth=1
	s_or_b64 exec, exec, s[0:1]
	v_lshrrev_b64 v[13:14], 20, v[13:14]
	v_cmp_gt_i32_e32 vcc, 16, v17
	v_cndmask_b32_e32 v16, 0, v14, vcc
	v_cndmask_b32_e32 v15, 7, v13, vcc
	v_cmp_ne_u64_e32 vcc, 0, v[15:16]
	v_cmp_ne_u32_e64 s[0:1], 0, v17
	v_mov_b32_e32 v14, v2
	s_or_b64 s[0:1], s[0:1], vcc
	v_mov_b32_e32 v13, v1
	s_and_saveexec_b64 s[18:19], s[0:1]
	s_xor_b64 s[0:1], exec, s[18:19]
; %bb.780:                              ;   in Loop: Header=BB18_734 Depth=1
	v_min_i32_e32 v5, 15, v17
	v_lshl_or_b32 v1, v5, 3, v1
	v_and_or_b32 v13, v15, 7, v1
; %bb.781:                              ;   in Loop: Header=BB18_734 Depth=1
	s_andn2_saveexec_b64 s[0:1], s[0:1]
	s_or_b64 exec, exec, s[0:1]
.LBB18_782:                             ;   in Loop: Header=BB18_734 Depth=1
	s_or_b64 exec, exec, s[16:17]
                                        ; implicit-def: $vgpr1
.LBB18_783:                             ;   in Loop: Header=BB18_734 Depth=1
	s_andn2_saveexec_b64 s[0:1], s[14:15]
; %bb.784:                              ;   in Loop: Header=BB18_734 Depth=1
	v_or_b32_e32 v13, 0x7e, v1
; %bb.785:                              ;   in Loop: Header=BB18_734 Depth=1
	s_or_b64 exec, exec, s[0:1]
                                        ; implicit-def: $vgpr15
.LBB18_786:                             ;   in Loop: Header=BB18_734 Depth=1
	s_andn2_saveexec_b64 s[0:1], s[12:13]
; %bb.787:                              ;   in Loop: Header=BB18_734 Depth=1
	v_or_b32_sdwa v13, v15, s41 dst_sel:DWORD dst_unused:UNUSED_PAD src0_sel:BYTE_3 src1_sel:DWORD
; %bb.788:                              ;   in Loop: Header=BB18_734 Depth=1
	s_or_b64 exec, exec, s[0:1]
	v_cvt_f32_f16_sdwa v1, v2 dst_sel:DWORD dst_unused:UNUSED_PAD src0_sel:WORD_1
	v_div_scale_f32 v2, s[0:1], s71, s71, v1
	v_div_scale_f32 v5, vcc, v1, s71, v1
	v_rcp_f32_e32 v14, v2
	v_fma_f32 v15, -v2, v14, 1.0
	v_fmac_f32_e32 v14, v15, v14
	v_mul_f32_e32 v15, v5, v14
	v_fma_f32 v16, -v2, v15, v5
	v_fmac_f32_e32 v15, v16, v14
	v_fma_f32 v2, -v2, v15, v5
	v_div_fmas_f32 v2, v2, v14, v15
	v_div_fixup_f32 v1, v2, s71, v1
	v_cvt_f16_f32_e32 v1, v1
	v_cvt_f32_f16_e32 v15, v1
                                        ; implicit-def: $vgpr1_vgpr2
	v_and_b32_e32 v5, 0x7f800000, v15
	v_cmp_ne_u64_e32 vcc, s[6:7], v[5:6]
	s_and_saveexec_b64 s[0:1], vcc
	s_xor_b64 s[12:13], exec, s[0:1]
	s_cbranch_execz .LBB18_804
; %bb.789:                              ;   in Loop: Header=BB18_734 Depth=1
	v_and_b32_e32 v5, 0x7fffffff, v15
	v_cmp_gt_u64_e32 vcc, s[8:9], v[5:6]
	v_and_b32_sdwa v14, v15, s39 dst_sel:DWORD dst_unused:UNUSED_PAD src0_sel:BYTE_3 src1_sel:DWORD
                                        ; implicit-def: $vgpr1_vgpr2
	s_and_saveexec_b64 s[0:1], vcc
	s_xor_b64 s[14:15], exec, s[0:1]
	s_cbranch_execz .LBB18_801
; %bb.790:                              ;   in Loop: Header=BB18_734 Depth=1
	v_mov_b32_e32 v1, 0
	v_cmp_ne_u32_e32 vcc, 0, v15
	v_mov_b32_e32 v2, 0
	s_and_saveexec_b64 s[16:17], vcc
	s_cbranch_execz .LBB18_800
; %bb.791:                              ;   in Loop: Header=BB18_734 Depth=1
	v_bfe_u32 v17, v15, 23, 8
	v_sub_u32_e32 v1, 0x79, v17
	v_cmp_gt_u32_e32 vcc, s40, v17
	v_cndmask_b32_e32 v1, 0, v1, vcc
	v_cmp_eq_u32_e32 vcc, 0, v17
	v_cndmask_b32_e32 v18, v1, v19, vcc
	v_and_b32_e32 v5, 0x7fffff, v15
	v_add_u32_e32 v1, 20, v18
	v_or_b32_e32 v15, 0x800000, v5
	v_lshlrev_b64 v[1:2], v1, -1
	v_cndmask_b32_e32 v5, v15, v5, vcc
	v_bfi_b32 v15, v1, 0, v5
	v_add_u32_e32 v1, 19, v18
	v_bfi_b32 v16, v2, 0, 0
	v_lshlrev_b64 v[22:23], v1, 1
	v_lshrrev_b64 v[1:2], v18, v[5:6]
	v_cmp_eq_u64_e64 s[0:1], v[15:16], v[22:23]
	v_mov_b32_e32 v16, v2
	v_mov_b32_e32 v15, v1
	s_and_saveexec_b64 s[18:19], s[0:1]
; %bb.792:                              ;   in Loop: Header=BB18_734 Depth=1
	v_bfe_u32 v2, v1, 20, 1
	v_add_co_u32_e64 v2, s[0:1], v1, v2
	v_add_co_u32_e64 v15, s[0:1], -1, v2
; %bb.793:                              ;   in Loop: Header=BB18_734 Depth=1
	s_or_b64 exec, exec, s[18:19]
	v_add_u32_e32 v2, 0xffffff81, v17
	v_cndmask_b32_e32 v2, v2, v20, vcc
	v_lshrrev_b32_e32 v5, 23, v1
	v_add3_u32 v18, v18, v2, v5
	v_add_u32_e32 v16, 6, v18
	v_and_b32_e32 v2, 0xfffff, v15
	v_add_u32_e32 v5, v2, v1
	v_cmp_ne_u32_e32 vcc, 0, v16
                                        ; implicit-def: $vgpr1_vgpr2
                                        ; implicit-def: $vgpr17
	s_and_saveexec_b64 s[0:1], vcc
	s_xor_b64 s[0:1], exec, s[0:1]
; %bb.794:                              ;   in Loop: Header=BB18_734 Depth=1
	v_cmp_lt_u64_e32 vcc, s[10:11], v[5:6]
	v_add_u32_e32 v1, 7, v18
	v_cndmask_b32_e32 v17, v16, v1, vcc
	v_cndmask_b32_e64 v1, 0, 1, vcc
	v_lshrrev_b64 v[1:2], v1, v[5:6]
; %bb.795:                              ;   in Loop: Header=BB18_734 Depth=1
	s_andn2_saveexec_b64 s[0:1], s[0:1]
; %bb.796:                              ;   in Loop: Header=BB18_734 Depth=1
	v_mov_b32_e32 v1, v5
	v_bfe_u32 v17, v5, 23, 1
	v_mov_b32_e32 v2, v6
; %bb.797:                              ;   in Loop: Header=BB18_734 Depth=1
	s_or_b64 exec, exec, s[0:1]
	v_lshrrev_b64 v[1:2], 20, v[1:2]
	v_cmp_gt_i32_e32 vcc, 16, v17
	v_cndmask_b32_e32 v16, 0, v2, vcc
	v_cndmask_b32_e32 v15, 7, v1, vcc
	v_cmp_ne_u64_e32 vcc, 0, v[15:16]
	v_cmp_ne_u32_e64 s[0:1], 0, v17
	s_or_b64 s[0:1], s[0:1], vcc
	v_mov_b32_e32 v1, v14
	v_mov_b32_e32 v2, v15
	s_and_saveexec_b64 s[18:19], s[0:1]
	s_xor_b64 s[0:1], exec, s[18:19]
; %bb.798:                              ;   in Loop: Header=BB18_734 Depth=1
	v_min_i32_e32 v1, 15, v17
	v_lshl_or_b32 v1, v1, 3, v14
	v_and_or_b32 v1, v15, 7, v1
; %bb.799:                              ;   in Loop: Header=BB18_734 Depth=1
	s_andn2_saveexec_b64 s[0:1], s[0:1]
	s_or_b64 exec, exec, s[0:1]
.LBB18_800:                             ;   in Loop: Header=BB18_734 Depth=1
	s_or_b64 exec, exec, s[16:17]
                                        ; implicit-def: $vgpr14
.LBB18_801:                             ;   in Loop: Header=BB18_734 Depth=1
	s_andn2_saveexec_b64 s[0:1], s[14:15]
; %bb.802:                              ;   in Loop: Header=BB18_734 Depth=1
	v_or_b32_e32 v1, 0x7e, v14
; %bb.803:                              ;   in Loop: Header=BB18_734 Depth=1
	s_or_b64 exec, exec, s[0:1]
                                        ; implicit-def: $vgpr15
.LBB18_804:                             ;   in Loop: Header=BB18_734 Depth=1
	s_andn2_saveexec_b64 s[0:1], s[12:13]
; %bb.805:                              ;   in Loop: Header=BB18_734 Depth=1
	v_or_b32_sdwa v1, v15, s41 dst_sel:DWORD dst_unused:UNUSED_PAD src0_sel:BYTE_3 src1_sel:DWORD
; %bb.806:                              ;   in Loop: Header=BB18_734 Depth=1
	s_or_b64 exec, exec, s[0:1]
	v_cvt_f32_f16_e32 v2, v3
	v_div_scale_f32 v5, s[0:1], s71, s71, v2
	v_div_scale_f32 v14, vcc, v2, s71, v2
	v_rcp_f32_e32 v15, v5
	v_fma_f32 v16, -v5, v15, 1.0
	v_fmac_f32_e32 v15, v16, v15
	v_mul_f32_e32 v16, v14, v15
	v_fma_f32 v17, -v5, v16, v14
	v_fmac_f32_e32 v16, v17, v15
	v_fma_f32 v5, -v5, v16, v14
	v_div_fmas_f32 v5, v5, v15, v16
                                        ; implicit-def: $vgpr14_vgpr15
	v_div_fixup_f32 v2, v5, s71, v2
	v_cvt_f16_f32_e32 v2, v2
	v_cvt_f32_f16_e32 v16, v2
	v_and_b32_e32 v5, 0x7f800000, v16
	v_cmp_ne_u64_e32 vcc, s[6:7], v[5:6]
	s_and_saveexec_b64 s[0:1], vcc
	s_xor_b64 s[12:13], exec, s[0:1]
	s_cbranch_execz .LBB18_822
; %bb.807:                              ;   in Loop: Header=BB18_734 Depth=1
	v_and_b32_e32 v5, 0x7fffffff, v16
	v_cmp_gt_u64_e32 vcc, s[8:9], v[5:6]
	v_and_b32_sdwa v2, v16, s39 dst_sel:DWORD dst_unused:UNUSED_PAD src0_sel:BYTE_3 src1_sel:DWORD
                                        ; implicit-def: $vgpr14_vgpr15
	s_and_saveexec_b64 s[0:1], vcc
	s_xor_b64 s[14:15], exec, s[0:1]
	s_cbranch_execz .LBB18_819
; %bb.808:                              ;   in Loop: Header=BB18_734 Depth=1
	v_mov_b32_e32 v14, 0
	v_cmp_ne_u32_e32 vcc, 0, v16
	v_mov_b32_e32 v15, 0
	s_and_saveexec_b64 s[16:17], vcc
	s_cbranch_execz .LBB18_818
; %bb.809:                              ;   in Loop: Header=BB18_734 Depth=1
	v_bfe_u32 v17, v16, 23, 8
	v_sub_u32_e32 v14, 0x79, v17
	v_cmp_gt_u32_e32 vcc, s40, v17
	v_cndmask_b32_e32 v14, 0, v14, vcc
	v_cmp_eq_u32_e32 vcc, 0, v17
	v_cndmask_b32_e32 v18, v14, v19, vcc
	v_and_b32_e32 v5, 0x7fffff, v16
	v_add_u32_e32 v14, 20, v18
	v_or_b32_e32 v16, 0x800000, v5
	v_lshlrev_b64 v[14:15], v14, -1
	v_cndmask_b32_e32 v5, v16, v5, vcc
	v_bfi_b32 v22, v14, 0, v5
	v_add_u32_e32 v14, 19, v18
	v_bfi_b32 v23, v15, 0, 0
	v_lshlrev_b64 v[24:25], v14, 1
	v_lshrrev_b64 v[14:15], v18, v[5:6]
	v_cmp_eq_u64_e64 s[0:1], v[22:23], v[24:25]
	v_mov_b32_e32 v16, v15
	v_mov_b32_e32 v15, v14
	s_and_saveexec_b64 s[18:19], s[0:1]
; %bb.810:                              ;   in Loop: Header=BB18_734 Depth=1
	v_bfe_u32 v5, v14, 20, 1
	v_add_co_u32_e64 v5, s[0:1], v14, v5
	v_add_co_u32_e64 v15, s[0:1], -1, v5
; %bb.811:                              ;   in Loop: Header=BB18_734 Depth=1
	s_or_b64 exec, exec, s[18:19]
	v_add_u32_e32 v5, 0xffffff81, v17
	v_cndmask_b32_e32 v5, v5, v20, vcc
	v_lshrrev_b32_e32 v16, 23, v14
	v_add3_u32 v17, v18, v5, v16
	v_add_u32_e32 v16, 6, v17
	v_and_b32_e32 v5, 0xfffff, v15
	v_add_u32_e32 v5, v5, v14
	v_cmp_ne_u32_e32 vcc, 0, v16
                                        ; implicit-def: $vgpr14_vgpr15
                                        ; implicit-def: $vgpr18
	s_and_saveexec_b64 s[0:1], vcc
	s_xor_b64 s[0:1], exec, s[0:1]
; %bb.812:                              ;   in Loop: Header=BB18_734 Depth=1
	v_cmp_lt_u64_e32 vcc, s[10:11], v[5:6]
	v_add_u32_e32 v14, 7, v17
	v_cndmask_b32_e32 v18, v16, v14, vcc
	v_cndmask_b32_e64 v14, 0, 1, vcc
	v_lshrrev_b64 v[14:15], v14, v[5:6]
; %bb.813:                              ;   in Loop: Header=BB18_734 Depth=1
	s_andn2_saveexec_b64 s[0:1], s[0:1]
; %bb.814:                              ;   in Loop: Header=BB18_734 Depth=1
	v_mov_b32_e32 v15, v6
	v_bfe_u32 v18, v5, 23, 1
	v_mov_b32_e32 v14, v5
; %bb.815:                              ;   in Loop: Header=BB18_734 Depth=1
	s_or_b64 exec, exec, s[0:1]
	v_lshrrev_b64 v[14:15], 20, v[14:15]
	v_cmp_gt_i32_e32 vcc, 16, v18
	v_cndmask_b32_e32 v17, 0, v15, vcc
	v_cndmask_b32_e32 v16, 7, v14, vcc
	v_cmp_ne_u64_e32 vcc, 0, v[16:17]
	v_cmp_ne_u32_e64 s[0:1], 0, v18
	v_mov_b32_e32 v15, v3
	s_or_b64 s[0:1], s[0:1], vcc
	v_mov_b32_e32 v14, v2
	s_and_saveexec_b64 s[18:19], s[0:1]
	s_xor_b64 s[0:1], exec, s[18:19]
; %bb.816:                              ;   in Loop: Header=BB18_734 Depth=1
	v_min_i32_e32 v5, 15, v18
	v_lshl_or_b32 v2, v5, 3, v2
	v_and_or_b32 v14, v16, 7, v2
; %bb.817:                              ;   in Loop: Header=BB18_734 Depth=1
	s_andn2_saveexec_b64 s[0:1], s[0:1]
	s_or_b64 exec, exec, s[0:1]
.LBB18_818:                             ;   in Loop: Header=BB18_734 Depth=1
	s_or_b64 exec, exec, s[16:17]
                                        ; implicit-def: $vgpr2
.LBB18_819:                             ;   in Loop: Header=BB18_734 Depth=1
	s_andn2_saveexec_b64 s[0:1], s[14:15]
; %bb.820:                              ;   in Loop: Header=BB18_734 Depth=1
	v_or_b32_e32 v14, 0x7e, v2
; %bb.821:                              ;   in Loop: Header=BB18_734 Depth=1
	s_or_b64 exec, exec, s[0:1]
                                        ; implicit-def: $vgpr16
.LBB18_822:                             ;   in Loop: Header=BB18_734 Depth=1
	s_andn2_saveexec_b64 s[0:1], s[12:13]
; %bb.823:                              ;   in Loop: Header=BB18_734 Depth=1
	v_or_b32_sdwa v14, v16, s41 dst_sel:DWORD dst_unused:UNUSED_PAD src0_sel:BYTE_3 src1_sel:DWORD
; %bb.824:                              ;   in Loop: Header=BB18_734 Depth=1
	s_or_b64 exec, exec, s[0:1]
	v_cvt_f32_f16_sdwa v2, v3 dst_sel:DWORD dst_unused:UNUSED_PAD src0_sel:WORD_1
	v_div_scale_f32 v3, s[0:1], s71, s71, v2
	v_div_scale_f32 v5, vcc, v2, s71, v2
	v_rcp_f32_e32 v15, v3
	v_fma_f32 v16, -v3, v15, 1.0
	v_fmac_f32_e32 v15, v16, v15
	v_mul_f32_e32 v16, v5, v15
	v_fma_f32 v17, -v3, v16, v5
	v_fmac_f32_e32 v16, v17, v15
	v_fma_f32 v3, -v3, v16, v5
	v_div_fmas_f32 v3, v3, v15, v16
	v_div_fixup_f32 v2, v3, s71, v2
	v_cvt_f16_f32_e32 v2, v2
	v_cvt_f32_f16_e32 v16, v2
                                        ; implicit-def: $vgpr2_vgpr3
	v_and_b32_e32 v5, 0x7f800000, v16
	v_cmp_ne_u64_e32 vcc, s[6:7], v[5:6]
	s_and_saveexec_b64 s[0:1], vcc
	s_xor_b64 s[12:13], exec, s[0:1]
	s_cbranch_execz .LBB18_840
; %bb.825:                              ;   in Loop: Header=BB18_734 Depth=1
	v_and_b32_e32 v5, 0x7fffffff, v16
	v_cmp_gt_u64_e32 vcc, s[8:9], v[5:6]
	v_and_b32_sdwa v15, v16, s39 dst_sel:DWORD dst_unused:UNUSED_PAD src0_sel:BYTE_3 src1_sel:DWORD
                                        ; implicit-def: $vgpr2_vgpr3
	s_and_saveexec_b64 s[0:1], vcc
	s_xor_b64 s[14:15], exec, s[0:1]
	s_cbranch_execz .LBB18_837
; %bb.826:                              ;   in Loop: Header=BB18_734 Depth=1
	v_mov_b32_e32 v2, 0
	v_cmp_ne_u32_e32 vcc, 0, v16
	v_mov_b32_e32 v3, 0
	s_and_saveexec_b64 s[16:17], vcc
	s_cbranch_execz .LBB18_836
; %bb.827:                              ;   in Loop: Header=BB18_734 Depth=1
	v_bfe_u32 v18, v16, 23, 8
	v_sub_u32_e32 v2, 0x79, v18
	v_cmp_gt_u32_e32 vcc, s40, v18
	v_cndmask_b32_e32 v2, 0, v2, vcc
	v_cmp_eq_u32_e32 vcc, 0, v18
	v_cndmask_b32_e32 v22, v2, v19, vcc
	v_and_b32_e32 v5, 0x7fffff, v16
	v_add_u32_e32 v2, 20, v22
	v_or_b32_e32 v16, 0x800000, v5
	v_lshlrev_b64 v[2:3], v2, -1
	v_cndmask_b32_e32 v5, v16, v5, vcc
	v_bfi_b32 v16, v2, 0, v5
	v_add_u32_e32 v2, 19, v22
	v_bfi_b32 v17, v3, 0, 0
	v_lshlrev_b64 v[23:24], v2, 1
	v_lshrrev_b64 v[2:3], v22, v[5:6]
	v_cmp_eq_u64_e64 s[0:1], v[16:17], v[23:24]
	v_mov_b32_e32 v17, v3
	v_mov_b32_e32 v16, v2
	s_and_saveexec_b64 s[18:19], s[0:1]
; %bb.828:                              ;   in Loop: Header=BB18_734 Depth=1
	v_bfe_u32 v3, v2, 20, 1
	v_add_co_u32_e64 v3, s[0:1], v2, v3
	v_add_co_u32_e64 v16, s[0:1], -1, v3
; %bb.829:                              ;   in Loop: Header=BB18_734 Depth=1
	s_or_b64 exec, exec, s[18:19]
	v_add_u32_e32 v3, 0xffffff81, v18
	v_cndmask_b32_e32 v3, v3, v20, vcc
	v_lshrrev_b32_e32 v5, 23, v2
	v_add3_u32 v22, v22, v3, v5
	v_add_u32_e32 v17, 6, v22
	v_and_b32_e32 v3, 0xfffff, v16
	v_add_u32_e32 v5, v3, v2
	v_cmp_ne_u32_e32 vcc, 0, v17
                                        ; implicit-def: $vgpr2_vgpr3
                                        ; implicit-def: $vgpr18
	s_and_saveexec_b64 s[0:1], vcc
	s_xor_b64 s[0:1], exec, s[0:1]
; %bb.830:                              ;   in Loop: Header=BB18_734 Depth=1
	v_cmp_lt_u64_e32 vcc, s[10:11], v[5:6]
	v_add_u32_e32 v2, 7, v22
	v_cndmask_b32_e32 v18, v17, v2, vcc
	v_cndmask_b32_e64 v2, 0, 1, vcc
	v_lshrrev_b64 v[2:3], v2, v[5:6]
; %bb.831:                              ;   in Loop: Header=BB18_734 Depth=1
	s_andn2_saveexec_b64 s[0:1], s[0:1]
; %bb.832:                              ;   in Loop: Header=BB18_734 Depth=1
	v_mov_b32_e32 v2, v5
	v_bfe_u32 v18, v5, 23, 1
	v_mov_b32_e32 v3, v6
; %bb.833:                              ;   in Loop: Header=BB18_734 Depth=1
	s_or_b64 exec, exec, s[0:1]
	v_lshrrev_b64 v[2:3], 20, v[2:3]
	v_cmp_gt_i32_e32 vcc, 16, v18
	v_cndmask_b32_e32 v17, 0, v3, vcc
	v_cndmask_b32_e32 v16, 7, v2, vcc
	v_cmp_ne_u64_e32 vcc, 0, v[16:17]
	v_cmp_ne_u32_e64 s[0:1], 0, v18
	s_or_b64 s[0:1], s[0:1], vcc
	v_mov_b32_e32 v2, v15
	v_mov_b32_e32 v3, v16
	s_and_saveexec_b64 s[18:19], s[0:1]
	s_xor_b64 s[0:1], exec, s[18:19]
; %bb.834:                              ;   in Loop: Header=BB18_734 Depth=1
	v_min_i32_e32 v2, 15, v18
	v_lshl_or_b32 v2, v2, 3, v15
	v_and_or_b32 v2, v16, 7, v2
; %bb.835:                              ;   in Loop: Header=BB18_734 Depth=1
	s_andn2_saveexec_b64 s[0:1], s[0:1]
	s_or_b64 exec, exec, s[0:1]
.LBB18_836:                             ;   in Loop: Header=BB18_734 Depth=1
	s_or_b64 exec, exec, s[16:17]
                                        ; implicit-def: $vgpr15
.LBB18_837:                             ;   in Loop: Header=BB18_734 Depth=1
	s_andn2_saveexec_b64 s[0:1], s[14:15]
; %bb.838:                              ;   in Loop: Header=BB18_734 Depth=1
	v_or_b32_e32 v2, 0x7e, v15
; %bb.839:                              ;   in Loop: Header=BB18_734 Depth=1
	s_or_b64 exec, exec, s[0:1]
                                        ; implicit-def: $vgpr16
.LBB18_840:                             ;   in Loop: Header=BB18_734 Depth=1
	s_andn2_saveexec_b64 s[0:1], s[12:13]
; %bb.841:                              ;   in Loop: Header=BB18_734 Depth=1
	v_or_b32_sdwa v2, v16, s41 dst_sel:DWORD dst_unused:UNUSED_PAD src0_sel:BYTE_3 src1_sel:DWORD
; %bb.842:                              ;   in Loop: Header=BB18_734 Depth=1
	s_or_b64 exec, exec, s[0:1]
	v_cvt_f32_f16_e32 v3, v4
	v_div_scale_f32 v5, s[0:1], s71, s71, v3
	v_div_scale_f32 v15, vcc, v3, s71, v3
	v_rcp_f32_e32 v16, v5
	v_fma_f32 v17, -v5, v16, 1.0
	v_fmac_f32_e32 v16, v17, v16
	v_mul_f32_e32 v17, v15, v16
	v_fma_f32 v18, -v5, v17, v15
	v_fmac_f32_e32 v17, v18, v16
	v_fma_f32 v5, -v5, v17, v15
	v_div_fmas_f32 v5, v5, v16, v17
                                        ; implicit-def: $vgpr15_vgpr16
	v_div_fixup_f32 v3, v5, s71, v3
	v_cvt_f16_f32_e32 v3, v3
	v_cvt_f32_f16_e32 v17, v3
	v_and_b32_e32 v5, 0x7f800000, v17
	v_cmp_ne_u64_e32 vcc, s[6:7], v[5:6]
	s_and_saveexec_b64 s[0:1], vcc
	s_xor_b64 s[12:13], exec, s[0:1]
	s_cbranch_execz .LBB18_858
; %bb.843:                              ;   in Loop: Header=BB18_734 Depth=1
	v_and_b32_e32 v5, 0x7fffffff, v17
	v_cmp_gt_u64_e32 vcc, s[8:9], v[5:6]
	v_and_b32_sdwa v3, v17, s39 dst_sel:DWORD dst_unused:UNUSED_PAD src0_sel:BYTE_3 src1_sel:DWORD
                                        ; implicit-def: $vgpr15_vgpr16
	s_and_saveexec_b64 s[0:1], vcc
	s_xor_b64 s[14:15], exec, s[0:1]
	s_cbranch_execz .LBB18_855
; %bb.844:                              ;   in Loop: Header=BB18_734 Depth=1
	v_mov_b32_e32 v15, 0
	v_cmp_ne_u32_e32 vcc, 0, v17
	v_mov_b32_e32 v16, 0
	s_and_saveexec_b64 s[16:17], vcc
	s_cbranch_execz .LBB18_854
; %bb.845:                              ;   in Loop: Header=BB18_734 Depth=1
	v_bfe_u32 v18, v17, 23, 8
	v_sub_u32_e32 v15, 0x79, v18
	v_cmp_gt_u32_e32 vcc, s40, v18
	v_cndmask_b32_e32 v15, 0, v15, vcc
	v_cmp_eq_u32_e32 vcc, 0, v18
	v_cndmask_b32_e32 v22, v15, v19, vcc
	v_and_b32_e32 v5, 0x7fffff, v17
	v_add_u32_e32 v15, 20, v22
	v_or_b32_e32 v17, 0x800000, v5
	v_lshlrev_b64 v[15:16], v15, -1
	v_cndmask_b32_e32 v5, v17, v5, vcc
	v_bfi_b32 v23, v15, 0, v5
	v_add_u32_e32 v15, 19, v22
	v_bfi_b32 v24, v16, 0, 0
	v_lshlrev_b64 v[25:26], v15, 1
	v_lshrrev_b64 v[15:16], v22, v[5:6]
	v_cmp_eq_u64_e64 s[0:1], v[23:24], v[25:26]
	v_mov_b32_e32 v17, v16
	v_mov_b32_e32 v16, v15
	s_and_saveexec_b64 s[18:19], s[0:1]
; %bb.846:                              ;   in Loop: Header=BB18_734 Depth=1
	v_bfe_u32 v5, v15, 20, 1
	v_add_co_u32_e64 v5, s[0:1], v15, v5
	v_add_co_u32_e64 v16, s[0:1], -1, v5
; %bb.847:                              ;   in Loop: Header=BB18_734 Depth=1
	s_or_b64 exec, exec, s[18:19]
	v_add_u32_e32 v5, 0xffffff81, v18
	v_cndmask_b32_e32 v5, v5, v20, vcc
	v_lshrrev_b32_e32 v17, 23, v15
	v_add3_u32 v18, v22, v5, v17
	v_add_u32_e32 v17, 6, v18
	v_and_b32_e32 v5, 0xfffff, v16
	v_add_u32_e32 v5, v5, v15
	v_cmp_ne_u32_e32 vcc, 0, v17
                                        ; implicit-def: $vgpr15_vgpr16
                                        ; implicit-def: $vgpr22
	s_and_saveexec_b64 s[0:1], vcc
	s_xor_b64 s[0:1], exec, s[0:1]
; %bb.848:                              ;   in Loop: Header=BB18_734 Depth=1
	v_cmp_lt_u64_e32 vcc, s[10:11], v[5:6]
	v_add_u32_e32 v15, 7, v18
	v_cndmask_b32_e32 v22, v17, v15, vcc
	v_cndmask_b32_e64 v15, 0, 1, vcc
	v_lshrrev_b64 v[15:16], v15, v[5:6]
; %bb.849:                              ;   in Loop: Header=BB18_734 Depth=1
	s_andn2_saveexec_b64 s[0:1], s[0:1]
; %bb.850:                              ;   in Loop: Header=BB18_734 Depth=1
	v_mov_b32_e32 v16, v6
	v_bfe_u32 v22, v5, 23, 1
	v_mov_b32_e32 v15, v5
; %bb.851:                              ;   in Loop: Header=BB18_734 Depth=1
	s_or_b64 exec, exec, s[0:1]
	v_lshrrev_b64 v[15:16], 20, v[15:16]
	v_cmp_gt_i32_e32 vcc, 16, v22
	v_cndmask_b32_e32 v18, 0, v16, vcc
	v_cndmask_b32_e32 v17, 7, v15, vcc
	v_cmp_ne_u64_e32 vcc, 0, v[17:18]
	v_cmp_ne_u32_e64 s[0:1], 0, v22
	v_mov_b32_e32 v16, v4
	s_or_b64 s[0:1], s[0:1], vcc
	v_mov_b32_e32 v15, v3
	s_and_saveexec_b64 s[18:19], s[0:1]
	s_xor_b64 s[0:1], exec, s[18:19]
; %bb.852:                              ;   in Loop: Header=BB18_734 Depth=1
	v_min_i32_e32 v5, 15, v22
	v_lshl_or_b32 v3, v5, 3, v3
	v_and_or_b32 v15, v17, 7, v3
; %bb.853:                              ;   in Loop: Header=BB18_734 Depth=1
	s_andn2_saveexec_b64 s[0:1], s[0:1]
	s_or_b64 exec, exec, s[0:1]
.LBB18_854:                             ;   in Loop: Header=BB18_734 Depth=1
	s_or_b64 exec, exec, s[16:17]
                                        ; implicit-def: $vgpr3
.LBB18_855:                             ;   in Loop: Header=BB18_734 Depth=1
	s_andn2_saveexec_b64 s[0:1], s[14:15]
; %bb.856:                              ;   in Loop: Header=BB18_734 Depth=1
	v_or_b32_e32 v15, 0x7e, v3
; %bb.857:                              ;   in Loop: Header=BB18_734 Depth=1
	s_or_b64 exec, exec, s[0:1]
                                        ; implicit-def: $vgpr17
.LBB18_858:                             ;   in Loop: Header=BB18_734 Depth=1
	s_andn2_saveexec_b64 s[0:1], s[12:13]
; %bb.859:                              ;   in Loop: Header=BB18_734 Depth=1
	v_or_b32_sdwa v15, v17, s41 dst_sel:DWORD dst_unused:UNUSED_PAD src0_sel:BYTE_3 src1_sel:DWORD
; %bb.860:                              ;   in Loop: Header=BB18_734 Depth=1
	s_or_b64 exec, exec, s[0:1]
	v_cvt_f32_f16_sdwa v3, v4 dst_sel:DWORD dst_unused:UNUSED_PAD src0_sel:WORD_1
	v_div_scale_f32 v4, s[0:1], s71, s71, v3
	v_div_scale_f32 v5, vcc, v3, s71, v3
	v_rcp_f32_e32 v16, v4
	v_fma_f32 v17, -v4, v16, 1.0
	v_fmac_f32_e32 v16, v17, v16
	v_mul_f32_e32 v17, v5, v16
	v_fma_f32 v18, -v4, v17, v5
	v_fmac_f32_e32 v17, v18, v16
	v_fma_f32 v4, -v4, v17, v5
	v_div_fmas_f32 v4, v4, v16, v17
	v_div_fixup_f32 v3, v4, s71, v3
	v_cvt_f16_f32_e32 v3, v3
	v_cvt_f32_f16_e32 v16, v3
	v_and_b32_e32 v5, 0x7f800000, v16
	v_cmp_ne_u64_e32 vcc, s[6:7], v[5:6]
                                        ; implicit-def: $vgpr4_vgpr5
	s_and_saveexec_b64 s[0:1], vcc
	s_xor_b64 s[12:13], exec, s[0:1]
	s_cbranch_execz .LBB18_876
; %bb.861:                              ;   in Loop: Header=BB18_734 Depth=1
	v_and_b32_e32 v5, 0x7fffffff, v16
	v_cmp_gt_u64_e32 vcc, s[8:9], v[5:6]
	v_and_b32_sdwa v3, v16, s39 dst_sel:DWORD dst_unused:UNUSED_PAD src0_sel:BYTE_3 src1_sel:DWORD
                                        ; implicit-def: $vgpr4_vgpr5
	s_and_saveexec_b64 s[0:1], vcc
	s_xor_b64 s[14:15], exec, s[0:1]
	s_cbranch_execz .LBB18_873
; %bb.862:                              ;   in Loop: Header=BB18_734 Depth=1
	v_mov_b32_e32 v4, 0
	v_cmp_ne_u32_e32 vcc, 0, v16
	v_mov_b32_e32 v5, 0
	s_and_saveexec_b64 s[16:17], vcc
	s_cbranch_execz .LBB18_872
; %bb.863:                              ;   in Loop: Header=BB18_734 Depth=1
	v_bfe_u32 v18, v16, 23, 8
	v_sub_u32_e32 v5, 0x79, v18
	v_cmp_gt_u32_e32 vcc, s40, v18
	v_cndmask_b32_e32 v5, 0, v5, vcc
	v_cmp_eq_u32_e32 vcc, 0, v18
	v_cndmask_b32_e32 v22, v5, v19, vcc
	v_and_b32_e32 v4, 0x7fffff, v16
	v_add_u32_e32 v5, 20, v22
	v_or_b32_e32 v23, 0x800000, v4
	v_lshlrev_b64 v[16:17], v5, -1
	v_cndmask_b32_e32 v5, v23, v4, vcc
	v_add_u32_e32 v4, 19, v22
	v_bfi_b32 v16, v16, 0, v5
	v_lshlrev_b64 v[23:24], v4, 1
	v_lshrrev_b64 v[4:5], v22, v[5:6]
	v_bfi_b32 v17, v17, 0, 0
	v_cmp_eq_u64_e64 s[0:1], v[16:17], v[23:24]
	v_mov_b32_e32 v17, v5
	v_mov_b32_e32 v16, v4
	s_and_saveexec_b64 s[18:19], s[0:1]
; %bb.864:                              ;   in Loop: Header=BB18_734 Depth=1
	v_bfe_u32 v5, v4, 20, 1
	v_add_co_u32_e64 v5, s[0:1], v4, v5
	v_add_co_u32_e64 v16, s[0:1], -1, v5
; %bb.865:                              ;   in Loop: Header=BB18_734 Depth=1
	s_or_b64 exec, exec, s[18:19]
	v_add_u32_e32 v5, 0xffffff81, v18
	v_cndmask_b32_e32 v5, v5, v20, vcc
	v_lshrrev_b32_e32 v17, 23, v4
	v_add3_u32 v23, v22, v5, v17
	v_add_u32_e32 v22, 6, v23
	v_and_b32_e32 v5, 0xfffff, v16
	v_add_u32_e32 v5, v5, v4
	v_cmp_ne_u32_e32 vcc, 0, v22
                                        ; implicit-def: $vgpr16_vgpr17
                                        ; implicit-def: $vgpr18
	s_and_saveexec_b64 s[0:1], vcc
	s_xor_b64 s[0:1], exec, s[0:1]
; %bb.866:                              ;   in Loop: Header=BB18_734 Depth=1
	v_cmp_lt_u64_e32 vcc, s[10:11], v[5:6]
	v_add_u32_e32 v4, 7, v23
	v_cndmask_b32_e32 v18, v22, v4, vcc
	v_cndmask_b32_e64 v4, 0, 1, vcc
	v_lshrrev_b64 v[16:17], v4, v[5:6]
; %bb.867:                              ;   in Loop: Header=BB18_734 Depth=1
	s_andn2_saveexec_b64 s[0:1], s[0:1]
; %bb.868:                              ;   in Loop: Header=BB18_734 Depth=1
	v_mov_b32_e32 v17, v6
	v_bfe_u32 v18, v5, 23, 1
	v_mov_b32_e32 v16, v5
; %bb.869:                              ;   in Loop: Header=BB18_734 Depth=1
	s_or_b64 exec, exec, s[0:1]
	v_lshrrev_b64 v[4:5], 20, v[16:17]
	v_cmp_gt_i32_e32 vcc, 16, v18
	v_cndmask_b32_e32 v17, 0, v5, vcc
	v_cndmask_b32_e32 v16, 7, v4, vcc
	v_cmp_ne_u64_e32 vcc, 0, v[16:17]
	v_cmp_ne_u32_e64 s[0:1], 0, v18
	v_mov_b32_e32 v5, v4
	s_or_b64 s[0:1], s[0:1], vcc
	v_mov_b32_e32 v4, v3
	s_and_saveexec_b64 s[18:19], s[0:1]
	s_xor_b64 s[0:1], exec, s[18:19]
; %bb.870:                              ;   in Loop: Header=BB18_734 Depth=1
	v_min_i32_e32 v4, 15, v18
	v_lshl_or_b32 v3, v4, 3, v3
	v_and_or_b32 v4, v16, 7, v3
; %bb.871:                              ;   in Loop: Header=BB18_734 Depth=1
	s_andn2_saveexec_b64 s[0:1], s[0:1]
	s_or_b64 exec, exec, s[0:1]
.LBB18_872:                             ;   in Loop: Header=BB18_734 Depth=1
	s_or_b64 exec, exec, s[16:17]
                                        ; implicit-def: $vgpr3
.LBB18_873:                             ;   in Loop: Header=BB18_734 Depth=1
	s_andn2_saveexec_b64 s[0:1], s[14:15]
; %bb.874:                              ;   in Loop: Header=BB18_734 Depth=1
	v_or_b32_e32 v4, 0x7e, v3
; %bb.875:                              ;   in Loop: Header=BB18_734 Depth=1
	s_or_b64 exec, exec, s[0:1]
                                        ; implicit-def: $vgpr16
.LBB18_876:                             ;   in Loop: Header=BB18_734 Depth=1
	s_andn2_saveexec_b64 s[0:1], s[12:13]
	s_cbranch_execz .LBB18_733
; %bb.877:                              ;   in Loop: Header=BB18_734 Depth=1
	v_or_b32_sdwa v4, v16, s41 dst_sel:DWORD dst_unused:UNUSED_PAD src0_sel:BYTE_3 src1_sel:DWORD
	s_branch .LBB18_733
.LBB18_878:
	s_or_b64 exec, exec, s[2:3]
	v_lshl_add_u32 v1, s20, 3, v0
	v_cmp_gt_i32_e32 vcc, s49, v1
	s_and_saveexec_b64 s[38:39], vcc
	s_cbranch_execz .LBB18_906
; %bb.879:
	v_add_u32_e32 v2, 1, v1
	v_max_i32_e32 v2, s49, v2
	s_and_b32 s0, s62, 0xffff
	v_sub_u32_e32 v11, v2, v1
	s_cmp_eq_u32 s0, 1
	v_cmp_lt_u32_e32 vcc, 1, v11
	s_cselect_b64 s[0:1], -1, 0
	s_and_b64 s[2:3], vcc, s[0:1]
	s_mov_b64 s[0:1], -1
	s_and_saveexec_b64 s[40:41], s[2:3]
	s_cbranch_execz .LBB18_883
; %bb.880:
	s_lshl_b64 s[0:1], s[36:37], 1
	s_add_u32 s50, s72, s0
	v_readlane_b32 s0, v63, 0
	s_addc_u32 s0, s0, s1
	s_add_u32 s51, s74, s36
	s_addc_u32 s1, s75, s37
	v_and_b32_e32 v12, -2, v11
	s_mov_b32 s52, s71
	s_mov_b64 s[44:45], 0
	v_mov_b32_e32 v13, s1
	v_mov_b32_e32 v14, s0
	s_movk_i32 s53, 0x80
	s_mov_b32 s54, 0x7f800000
	s_mov_b32 s55, 0x43e00001
	s_movk_i32 s56, 0xff81
	s_movk_i32 s57, 0x7a
	;; [unrolled: 1-line block ×3, first 2 shown]
	v_mov_b32_e32 v15, 0xffffff82
	v_mov_b32_e32 v16, 0x78
	;; [unrolled: 1-line block ×3, first 2 shown]
	s_mov_b64 s[46:47], 0xffffff
	s_movk_i32 s59, 0x7f
	v_mov_b32_e32 v4, v1
	v_mov_b32_e32 v17, v12
.LBB18_881:                             ; =>This Inner Loop Header: Depth=1
	v_ashrrev_i32_e32 v5, 31, v4
	v_add_co_u32_e32 v9, vcc, s51, v4
	v_lshlrev_b64 v[18:19], 1, v[4:5]
	v_addc_co_u32_e32 v10, vcc, v13, v5, vcc
	v_add_co_u32_e32 v18, vcc, s50, v18
	v_addc_co_u32_e32 v19, vcc, v14, v19, vcc
	global_load_dword v2, v[18:19], off
	v_mov_b32_e32 v6, v3
	v_mov_b32_e32 v7, v3
	;; [unrolled: 1-line block ×3, first 2 shown]
	v_add_u32_e32 v17, -2, v17
	v_cmp_eq_u32_e64 s[0:1], 0, v17
	v_add_u32_e32 v4, 2, v4
	s_waitcnt vmcnt(0)
	v_cvt_f32_f16_e32 v5, v2
	v_cvt_f32_f16_sdwa v2, v2 dst_sel:DWORD dst_unused:UNUSED_PAD src0_sel:WORD_1
	v_div_scale_f32 v18, s[2:3], s71, s71, v5
	v_div_scale_f32 v19, s[2:3], s52, s52, v2
	v_div_scale_f32 v20, vcc, v5, s71, v5
	v_div_scale_f32 v21, s[2:3], v2, s52, v2
	v_rcp_f32_e32 v22, v18
	v_rcp_f32_e32 v23, v19
	v_fma_f32 v24, -v18, v22, 1.0
	v_fmac_f32_e32 v22, v24, v22
	v_fma_f32 v25, -v19, v23, 1.0
	v_fmac_f32_e32 v23, v25, v23
	v_mul_f32_e32 v24, v20, v22
	v_mul_f32_e32 v25, v21, v23
	v_fma_f32 v26, -v18, v24, v20
	v_fma_f32 v27, -v19, v25, v21
	v_fmac_f32_e32 v24, v26, v22
	v_fmac_f32_e32 v25, v27, v23
	v_fma_f32 v18, -v18, v24, v20
	v_fma_f32 v19, -v19, v25, v21
	v_div_fmas_f32 v18, v18, v22, v24
	s_mov_b64 vcc, s[2:3]
	v_div_fmas_f32 v19, v19, v23, v25
	v_div_fixup_f32 v5, v18, s71, v5
	v_cvt_f16_f32_e32 v5, v5
	v_div_fixup_f32 v2, v19, s52, v2
	v_cvt_f16_f32_e32 v2, v2
	v_cvt_f32_f16_e32 v5, v5
	v_cvt_f32_f16_e32 v2, v2
	v_lshrrev_b32_e32 v19, 23, v5
	v_and_b32_e32 v18, 0x7fffff, v5
	v_lshrrev_b32_e32 v22, 23, v2
	v_sub_u32_sdwa v24, s58, v19 dst_sel:DWORD dst_unused:UNUSED_PAD src0_sel:DWORD src1_sel:BYTE_0
	v_cmp_lt_u32_sdwa s[8:9], v19, s57 src0_sel:BYTE_0 src1_sel:DWORD
	v_and_b32_sdwa v28, v5, s53 dst_sel:DWORD dst_unused:UNUSED_PAD src0_sel:BYTE_3 src1_sel:DWORD
	v_and_b32_e32 v20, 0x7fffffff, v5
	v_cmp_ne_u32_e64 s[12:13], 0, v5
	v_and_b32_e32 v21, 0x7f800000, v5
	v_cmp_eq_u32_e32 vcc, 0, v5
	v_or_b32_sdwa v29, v5, s59 dst_sel:DWORD dst_unused:UNUSED_PAD src0_sel:BYTE_3 src1_sel:DWORD
	v_and_b32_e32 v5, 0x7fffff, v2
	v_add_u32_sdwa v23, v19, s56 dst_sel:DWORD dst_unused:UNUSED_PAD src0_sel:BYTE_0 src1_sel:DWORD
	v_cmp_eq_u32_sdwa s[14:15], v19, v3 src0_sel:BYTE_0 src1_sel:DWORD
	v_or_b32_e32 v19, 0x800000, v18
	v_sub_u32_sdwa v26, s58, v22 dst_sel:DWORD dst_unused:UNUSED_PAD src0_sel:DWORD src1_sel:BYTE_0
	v_cndmask_b32_e64 v24, 0, v24, s[8:9]
	v_cmp_lt_u32_sdwa s[20:21], v22, s57 src0_sel:BYTE_0 src1_sel:DWORD
	v_cmp_gt_u32_e64 s[4:5], s55, v20
	v_and_b32_sdwa v31, v2, s53 dst_sel:DWORD dst_unused:UNUSED_PAD src0_sel:BYTE_3 src1_sel:DWORD
	v_and_b32_e32 v20, 0x7f800000, v2
	v_cmp_ne_u32_e64 s[2:3], s54, v21
	v_and_b32_e32 v21, 0x7fffffff, v2
	v_cmp_eq_u32_e64 s[6:7], 0, v2
	v_cmp_ne_u32_e64 s[16:17], 0, v2
	v_or_b32_sdwa v32, v2, s59 dst_sel:DWORD dst_unused:UNUSED_PAD src0_sel:BYTE_3 src1_sel:DWORD
	v_cmp_eq_u32_sdwa s[18:19], v22, v3 src0_sel:BYTE_0 src1_sel:DWORD
	v_cndmask_b32_e64 v2, v19, v18, s[14:15]
	v_or_b32_e32 v18, 0x800000, v5
	v_cndmask_b32_e64 v19, 0, v26, s[20:21]
	v_cndmask_b32_e64 v36, v24, v16, s[14:15]
	v_cmp_ne_u32_e64 s[8:9], s54, v20
	v_cndmask_b32_e64 v5, v18, v5, s[18:19]
	v_cndmask_b32_e64 v37, v19, v16, s[18:19]
	v_add_u32_e32 v20, 20, v36
	v_lshrrev_b64 v[18:19], v36, v[2:3]
	v_add_u32_sdwa v25, v22, s56 dst_sel:DWORD dst_unused:UNUSED_PAD src0_sel:BYTE_0 src1_sel:DWORD
	v_cmp_gt_u32_e64 s[10:11], s55, v21
	v_add_u32_e32 v21, 19, v36
	v_lshlrev_b64 v[19:20], v20, -1
	v_cndmask_b32_e64 v33, v23, v15, s[14:15]
	v_cndmask_b32_e64 v35, v25, v15, s[18:19]
	v_lshlrev_b64 v[21:22], v21, 1
	v_add_u32_e32 v25, 20, v37
	v_lshrrev_b64 v[23:24], v37, v[5:6]
	v_add_u32_e32 v26, 19, v37
	v_lshlrev_b64 v[24:25], v25, -1
	v_bfi_b32 v20, v20, 0, 0
	v_bfi_b32 v19, v19, 0, v2
	v_lshlrev_b64 v[26:27], v26, 1
	v_bfe_u32 v6, v18, 20, 1
	v_cmp_ne_u64_e64 s[14:15], v[19:20], v[21:22]
	s_and_b64 s[60:61], s[2:3], s[4:5]
	v_add3_u32 v2, v18, v6, -1
	v_bfi_b32 v6, v25, 0, 0
	v_bfi_b32 v5, v24, 0, v5
	s_and_b64 s[72:73], s[60:61], s[12:13]
	v_cmp_ne_u64_e64 s[18:19], v[5:6], v[26:27]
	s_and_b64 s[12:13], s[12:13], s[14:15]
	v_lshrrev_b32_e32 v38, 23, v18
	s_and_b64 s[12:13], s[12:13], s[4:5]
	v_add3_u32 v33, v36, v33, v38
	v_bfe_u32 v38, v23, 20, 1
	v_cndmask_b32_e64 v2, v2, v18, s[12:13]
	s_and_b64 s[12:13], s[16:17], s[18:19]
	v_add3_u32 v20, v23, v38, -1
	s_and_b64 s[12:13], s[12:13], s[10:11]
	v_and_b32_e32 v2, 0xfffff, v2
	v_cndmask_b32_e64 v6, v20, v23, s[12:13]
	v_add_u32_e32 v2, v2, v18
	v_and_b32_e32 v6, 0xfffff, v6
	s_and_b64 s[20:21], s[8:9], s[10:11]
	v_lshrrev_b32_e32 v36, 23, v23
	v_add_u32_e32 v21, 6, v33
	v_add_u32_e32 v6, v6, v23
	v_cmp_lt_u64_e64 s[12:13], s[46:47], v[2:3]
	s_and_b64 s[74:75], s[20:21], s[16:17]
	v_add3_u32 v19, v37, v35, v36
	v_add_u32_e32 v22, 7, v33
	v_lshrrev_b32_e32 v20, 23, v2
	v_cmp_ne_u32_e64 s[14:15], 0, v21
	v_cmp_lt_u64_e64 s[16:17], s[46:47], v[6:7]
	v_add_u32_e32 v5, 6, v19
	v_add_u32_e32 v19, 7, v19
	v_cndmask_b32_e64 v18, v21, v22, s[12:13]
	v_and_b32_e32 v20, 1, v20
	v_lshrrev_b32_e32 v21, 23, v6
	s_and_b64 s[12:13], s[14:15], s[12:13]
	v_cndmask_b32_e64 v19, v5, v19, s[16:17]
	v_and_b32_e32 v21, 1, v21
	v_cndmask_b32_e64 v20, v20, v18, s[14:15]
	v_cndmask_b32_e64 v18, 0, 1, s[12:13]
	v_cmp_ne_u32_e64 s[12:13], 0, v5
	v_cndmask_b32_e64 v21, v21, v19, s[12:13]
	s_and_b64 s[12:13], s[12:13], s[16:17]
	v_cndmask_b32_e64 v5, 0, 1, s[12:13]
	v_lshrrev_b64 v[18:19], v18, v[2:3]
	v_cmp_eq_u32_e64 s[12:13], 0, v20
	v_min_i32_e32 v2, 15, v20
	v_lshrrev_b64 v[5:6], v5, v[6:7]
	v_lshlrev_b32_e32 v2, 3, v2
	s_and_b64 s[16:17], s[72:73], s[12:13]
	v_lshrrev_b32_e32 v7, 20, v18
	v_cmp_gt_i32_e64 s[12:13], 16, v20
	v_or_b32_e32 v18, v2, v28
	v_lshrrev_b32_e32 v2, 20, v5
	v_cndmask_b32_e64 v7, 7, v7, s[12:13]
	v_cmp_gt_i32_e64 s[12:13], 16, v21
	v_cmp_eq_u32_e64 s[14:15], 0, v21
	v_min_i32_e32 v6, 15, v21
	v_cndmask_b32_e64 v2, 7, v2, s[12:13]
	v_cmp_eq_u64_e64 s[12:13], 0, v[7:8]
	v_lshlrev_b32_e32 v6, 3, v6
	s_and_b64 s[18:19], s[74:75], s[14:15]
	v_cmp_eq_u64_e64 s[14:15], 0, v[2:3]
	v_or_b32_e32 v5, v6, v31
	v_and_or_b32 v6, v7, 7, v18
	s_and_b64 s[12:13], s[16:17], s[12:13]
	v_and_or_b32 v2, v2, 7, v5
	v_cndmask_b32_e64 v5, v6, v28, s[12:13]
	s_and_b64 s[12:13], s[60:61], vcc
	s_and_b64 vcc, s[18:19], s[14:15]
	v_cndmask_b32_e32 v2, v2, v31, vcc
	s_and_b64 s[6:7], s[20:21], s[6:7]
	v_or_b32_e32 v34, 0x7e, v31
	v_cndmask_b32_e64 v2, v2, 0, s[6:7]
	v_or_b32_e32 v30, 0x7e, v28
	v_cndmask_b32_e64 v5, v5, 0, s[12:13]
	v_cndmask_b32_e64 v2, v34, v2, s[10:11]
	v_cndmask_b32_e64 v5, v30, v5, s[4:5]
	v_cndmask_b32_e64 v2, v32, v2, s[8:9]
	v_cndmask_b32_e64 v5, v29, v5, s[2:3]
	v_lshlrev_b16_e32 v2, 8, v2
	s_or_b64 s[44:45], s[0:1], s[44:45]
	v_or_b32_sdwa v2, v5, v2 dst_sel:DWORD dst_unused:UNUSED_PAD src0_sel:BYTE_0 src1_sel:DWORD
	global_store_short v[9:10], v2, off
	s_andn2_b64 exec, exec, s[44:45]
	s_cbranch_execnz .LBB18_881
; %bb.882:
	s_or_b64 exec, exec, s[44:45]
	v_cmp_ne_u32_e32 vcc, v11, v12
	v_add_u32_e32 v1, v1, v12
	s_orn2_b64 s[0:1], vcc, exec
.LBB18_883:
	s_or_b64 exec, exec, s[40:41]
	s_and_b64 exec, exec, s[0:1]
	s_cbranch_execz .LBB18_906
; %bb.884:
	s_lshl_b64 s[0:1], s[36:37], 1
	s_add_u32 s0, s42, s0
	s_addc_u32 s1, s43, s1
	v_ashrrev_i32_e32 v2, 31, v1
	v_lshlrev_b64 v[4:5], 1, v[1:2]
	s_add_u32 s0, s24, s0
	s_addc_u32 s1, s25, s1
	s_lshl_b32 s20, s62, 1
	v_add_co_u32_e32 v4, vcc, s0, v4
	s_add_u32 s0, s36, s64
	v_mov_b32_e32 v6, s1
	s_addc_u32 s1, s37, s63
	s_add_u32 s0, s0, s66
	s_addc_u32 s1, s1, s65
	s_add_u32 s0, s28, s0
	v_addc_co_u32_e32 v5, vcc, v6, v5, vcc
	s_addc_u32 s1, s29, s1
	v_mov_b32_e32 v6, s1
	v_add_co_u32_e32 v9, vcc, s0, v1
	v_mov_b32_e32 v3, 0
	v_addc_co_u32_e32 v10, vcc, v6, v2, vcc
	s_mov_b64 s[2:3], 0
	s_mov_b64 s[4:5], 0x7f800000
	s_movk_i32 s21, 0x80
	s_mov_b64 s[6:7], 0x43e00001
	s_movk_i32 s36, 0x7a
	s_mov_b64 s[8:9], 0xffffff
	s_movk_i32 s37, 0x7f
	v_mov_b32_e32 v11, 0x78
	v_mov_b32_e32 v12, 0xffffff82
	s_mov_b64 s[10:11], 0
	s_branch .LBB18_886
.LBB18_885:                             ;   in Loop: Header=BB18_886 Depth=1
	s_or_b64 exec, exec, s[0:1]
	v_mov_b32_e32 v7, s11
	v_add_co_u32_e32 v6, vcc, s10, v9
	v_addc_co_u32_e32 v7, vcc, v10, v7, vcc
	s_add_u32 s10, s10, s62
	global_store_byte v[6:7], v2, off
	v_add_u32_e32 v2, s10, v1
	s_addc_u32 s11, s11, 0
	v_cmp_le_i32_e32 vcc, s49, v2
	s_or_b64 s[2:3], vcc, s[2:3]
	v_add_co_u32_e32 v4, vcc, s20, v4
	v_addc_co_u32_e32 v5, vcc, 0, v5, vcc
	s_andn2_b64 exec, exec, s[2:3]
	s_cbranch_execz .LBB18_906
.LBB18_886:                             ; =>This Inner Loop Header: Depth=1
	global_load_ushort v2, v[4:5], off
	s_waitcnt vmcnt(0)
	v_cvt_f32_f16_e32 v2, v2
	v_div_scale_f32 v6, s[0:1], s71, s71, v2
	v_div_scale_f32 v7, vcc, v2, s71, v2
	v_rcp_f32_e32 v8, v6
	v_fma_f32 v13, -v6, v8, 1.0
	v_fmac_f32_e32 v8, v13, v8
	v_mul_f32_e32 v13, v7, v8
	v_fma_f32 v14, -v6, v13, v7
	v_fmac_f32_e32 v13, v14, v8
	v_fma_f32 v6, -v6, v13, v7
	v_div_fmas_f32 v6, v6, v8, v13
	v_div_fixup_f32 v2, v6, s71, v2
	v_cvt_f16_f32_e32 v2, v2
	v_cvt_f32_f16_e32 v6, v2
	v_and_b32_e32 v2, 0x7f800000, v6
	v_cmp_ne_u64_e32 vcc, s[4:5], v[2:3]
                                        ; implicit-def: $vgpr2
	s_and_saveexec_b64 s[0:1], vcc
	s_xor_b64 s[12:13], exec, s[0:1]
	s_cbranch_execz .LBB18_904
; %bb.887:                              ;   in Loop: Header=BB18_886 Depth=1
	v_and_b32_e32 v2, 0x7fffffff, v6
	v_cmp_gt_u64_e32 vcc, s[6:7], v[2:3]
	v_and_b32_sdwa v13, v6, s21 dst_sel:DWORD dst_unused:UNUSED_PAD src0_sel:BYTE_3 src1_sel:DWORD
                                        ; implicit-def: $vgpr2
	s_and_saveexec_b64 s[0:1], vcc
	s_xor_b64 s[14:15], exec, s[0:1]
	s_cbranch_execz .LBB18_901
; %bb.888:                              ;   in Loop: Header=BB18_886 Depth=1
	v_cmp_ne_u32_e32 vcc, 0, v6
	v_mov_b32_e32 v2, 0
	s_and_saveexec_b64 s[16:17], vcc
	s_cbranch_execz .LBB18_900
; %bb.889:                              ;   in Loop: Header=BB18_886 Depth=1
	v_bfe_u32 v14, v6, 23, 8
	v_and_b32_e32 v2, 0x7fffff, v6
	v_sub_u32_e32 v6, 0x79, v14
	v_cmp_gt_u32_e32 vcc, s36, v14
	v_cndmask_b32_e32 v6, 0, v6, vcc
	v_cmp_eq_u32_e32 vcc, 0, v14
	v_cndmask_b32_e32 v15, v6, v11, vcc
	v_add_u32_e32 v6, 20, v15
	v_or_b32_e32 v8, 0x800000, v2
	v_lshlrev_b64 v[6:7], v6, -1
	v_cndmask_b32_e32 v2, v8, v2, vcc
	v_bfi_b32 v16, v6, 0, v2
	v_add_u32_e32 v6, 19, v15
	v_bfi_b32 v17, v7, 0, 0
	v_lshlrev_b64 v[18:19], v6, 1
	v_lshrrev_b64 v[6:7], v15, v[2:3]
	v_cmp_eq_u64_e64 s[0:1], v[16:17], v[18:19]
	v_mov_b32_e32 v8, v7
	v_mov_b32_e32 v7, v6
	s_and_saveexec_b64 s[18:19], s[0:1]
; %bb.890:                              ;   in Loop: Header=BB18_886 Depth=1
	v_bfe_u32 v2, v6, 20, 1
	v_add_co_u32_e64 v2, s[0:1], v6, v2
	v_add_co_u32_e64 v7, s[0:1], -1, v2
; %bb.891:                              ;   in Loop: Header=BB18_886 Depth=1
	s_or_b64 exec, exec, s[18:19]
	v_add_u32_e32 v2, 0xffffff81, v14
	v_cndmask_b32_e32 v2, v2, v12, vcc
	v_lshrrev_b32_e32 v8, 23, v6
	v_add3_u32 v15, v15, v2, v8
	v_add_u32_e32 v14, 6, v15
	v_and_b32_e32 v2, 0xfffff, v7
	v_add_u32_e32 v2, v2, v6
	v_cmp_ne_u32_e32 vcc, 0, v14
                                        ; implicit-def: $vgpr6_vgpr7
                                        ; implicit-def: $vgpr8
	s_and_saveexec_b64 s[0:1], vcc
	s_xor_b64 s[0:1], exec, s[0:1]
; %bb.892:                              ;   in Loop: Header=BB18_886 Depth=1
	v_cmp_lt_u64_e32 vcc, s[8:9], v[2:3]
	v_add_u32_e32 v6, 7, v15
	v_cndmask_b32_e32 v8, v14, v6, vcc
	v_cndmask_b32_e64 v6, 0, 1, vcc
	v_lshrrev_b64 v[6:7], v6, v[2:3]
; %bb.893:                              ;   in Loop: Header=BB18_886 Depth=1
	s_andn2_saveexec_b64 s[0:1], s[0:1]
; %bb.894:                              ;   in Loop: Header=BB18_886 Depth=1
	v_mov_b32_e32 v7, v3
	v_bfe_u32 v8, v2, 23, 1
	v_mov_b32_e32 v6, v2
; %bb.895:                              ;   in Loop: Header=BB18_886 Depth=1
	s_or_b64 exec, exec, s[0:1]
	v_lshrrev_b64 v[6:7], 20, v[6:7]
	v_cmp_gt_i32_e32 vcc, 16, v8
	v_cndmask_b32_e32 v7, 0, v7, vcc
	v_cndmask_b32_e32 v6, 7, v6, vcc
	v_cmp_ne_u64_e32 vcc, 0, v[6:7]
	v_cmp_ne_u32_e64 s[0:1], 0, v8
	s_or_b64 s[0:1], s[0:1], vcc
                                        ; implicit-def: $vgpr2
	s_and_saveexec_b64 s[18:19], s[0:1]
	s_xor_b64 s[0:1], exec, s[18:19]
; %bb.896:                              ;   in Loop: Header=BB18_886 Depth=1
	v_min_i32_e32 v2, 15, v8
	v_lshl_or_b32 v2, v2, 3, v13
	v_and_or_b32 v2, v6, 7, v2
                                        ; implicit-def: $vgpr13
; %bb.897:                              ;   in Loop: Header=BB18_886 Depth=1
	s_andn2_saveexec_b64 s[0:1], s[0:1]
; %bb.898:                              ;   in Loop: Header=BB18_886 Depth=1
	v_mov_b32_e32 v2, v13
; %bb.899:                              ;   in Loop: Header=BB18_886 Depth=1
	s_or_b64 exec, exec, s[0:1]
.LBB18_900:                             ;   in Loop: Header=BB18_886 Depth=1
	s_or_b64 exec, exec, s[16:17]
                                        ; implicit-def: $vgpr13
.LBB18_901:                             ;   in Loop: Header=BB18_886 Depth=1
	s_andn2_saveexec_b64 s[0:1], s[14:15]
; %bb.902:                              ;   in Loop: Header=BB18_886 Depth=1
	v_or_b32_e32 v2, 0x7e, v13
; %bb.903:                              ;   in Loop: Header=BB18_886 Depth=1
	s_or_b64 exec, exec, s[0:1]
                                        ; implicit-def: $vgpr6
.LBB18_904:                             ;   in Loop: Header=BB18_886 Depth=1
	s_andn2_saveexec_b64 s[0:1], s[12:13]
	s_cbranch_execz .LBB18_885
; %bb.905:                              ;   in Loop: Header=BB18_886 Depth=1
	v_or_b32_sdwa v2, v6, s37 dst_sel:DWORD dst_unused:UNUSED_PAD src0_sel:BYTE_3 src1_sel:DWORD
	s_branch .LBB18_885
.LBB18_906:
	s_or_b64 exec, exec, s[38:39]
	s_mov_b64 s[0:1], 0
.LBB18_907:
	s_and_b64 vcc, exec, s[0:1]
	s_cbranch_vccz .LBB18_1056
; %bb.908:
	s_ashr_i32 s20, s48, 3
	v_cmp_gt_i32_e32 vcc, s20, v0
	s_and_saveexec_b64 s[2:3], vcc
	s_cbranch_execz .LBB18_1055
; %bb.909:
	s_add_u32 s0, s64, s66
	s_addc_u32 s1, s63, s65
	s_add_u32 s0, s28, s0
	v_lshlrev_b32_e32 v1, 3, v0
	s_addc_u32 s1, s29, s1
	s_lshl_b32 s21, s62, 3
	v_mov_b32_e32 v2, s1
	v_add_co_u32_e32 v7, vcc, s0, v1
	s_add_u32 s0, s24, s42
	v_addc_co_u32_e32 v8, vcc, 0, v2, vcc
	v_lshlrev_b32_e32 v1, 4, v0
	s_addc_u32 s1, s25, s43
	v_mov_b32_e32 v2, s1
	v_add_co_u32_e32 v9, vcc, s0, v1
	v_mov_b32_e32 v6, 0
	v_addc_co_u32_e32 v10, vcc, 0, v2, vcc
	s_lshl_b32 s24, s62, 4
	s_mov_b64 s[4:5], 0
	s_mov_b64 s[6:7], 0x7f800000
	s_movk_i32 s25, 0x80
	s_mov_b64 s[8:9], 0x43e00001
	s_movk_i32 s28, 0x7a
	;; [unrolled: 2-line block ×3, first 2 shown]
	s_mov_b32 s36, 0xff00
	s_mov_b32 s37, 0x4020c0c
	v_mov_b32_e32 v19, 0x78
	v_mov_b32_e32 v20, 0xffffff82
	;; [unrolled: 1-line block ×3, first 2 shown]
	s_branch .LBB18_911
.LBB18_910:                             ;   in Loop: Header=BB18_911 Depth=1
	s_or_b64 exec, exec, s[0:1]
	v_lshlrev_b32_e32 v3, 24, v4
	v_lshlrev_b32_e32 v4, 16, v15
	v_and_b32_e32 v4, 0xff0000, v4
	v_lshlrev_b32_e32 v2, 8, v2
	v_or_b32_e32 v3, v3, v4
	v_and_b32_e32 v2, 0xff00, v2
	v_and_b32_e32 v4, 0xff, v14
	v_or3_b32 v2, v3, v2, v4
	v_lshlrev_b32_e32 v3, 16, v13
	v_lshlrev_b32_e32 v4, 8, v12
	v_perm_b32 v1, v1, v3, s37
	v_and_or_b32 v1, v4, s36, v1
	v_or_b32_sdwa v1, v1, v11 dst_sel:DWORD dst_unused:UNUSED_PAD src0_sel:DWORD src1_sel:BYTE_0
	global_store_dwordx2 v[7:8], v[1:2], off
	v_add_co_u32_e32 v7, vcc, s21, v7
	v_add_u32_e32 v21, s62, v21
	v_addc_co_u32_e32 v8, vcc, 0, v8, vcc
	v_cmp_le_i32_e32 vcc, s20, v21
	s_or_b64 s[4:5], vcc, s[4:5]
	v_add_co_u32_e32 v9, vcc, s24, v9
	v_addc_co_u32_e32 v10, vcc, 0, v10, vcc
	s_andn2_b64 exec, exec, s[4:5]
	s_cbranch_execz .LBB18_1055
.LBB18_911:                             ; =>This Inner Loop Header: Depth=1
	global_load_dwordx4 v[1:4], v[9:10], off
	s_waitcnt vmcnt(0)
	v_cvt_f32_f16_e32 v5, v1
	v_div_scale_f32 v11, s[0:1], s71, s71, v5
	v_div_scale_f32 v12, vcc, v5, s71, v5
	v_rcp_f32_e32 v13, v11
	v_fma_f32 v14, -v11, v13, 1.0
	v_fmac_f32_e32 v13, v14, v13
	v_mul_f32_e32 v14, v12, v13
	v_fma_f32 v15, -v11, v14, v12
	v_fmac_f32_e32 v14, v15, v13
	v_fma_f32 v11, -v11, v14, v12
	v_div_fmas_f32 v11, v11, v13, v14
	v_div_fixup_f32 v5, v11, s71, v5
	v_cvt_f16_f32_e32 v5, v5
                                        ; implicit-def: $vgpr11_vgpr12
	v_cvt_f32_f16_e32 v14, v5
	v_and_b32_e32 v5, 0x7f800000, v14
	v_cmp_ne_u64_e32 vcc, s[6:7], v[5:6]
	s_and_saveexec_b64 s[0:1], vcc
	s_xor_b64 s[12:13], exec, s[0:1]
	s_cbranch_execz .LBB18_927
; %bb.912:                              ;   in Loop: Header=BB18_911 Depth=1
	v_and_b32_e32 v5, 0x7fffffff, v14
	v_cmp_gt_u64_e32 vcc, s[8:9], v[5:6]
	v_and_b32_sdwa v13, v14, s25 dst_sel:DWORD dst_unused:UNUSED_PAD src0_sel:BYTE_3 src1_sel:DWORD
                                        ; implicit-def: $vgpr11_vgpr12
	s_and_saveexec_b64 s[0:1], vcc
	s_xor_b64 s[14:15], exec, s[0:1]
	s_cbranch_execz .LBB18_924
; %bb.913:                              ;   in Loop: Header=BB18_911 Depth=1
	v_mov_b32_e32 v11, 0
	v_cmp_ne_u32_e32 vcc, 0, v14
	v_mov_b32_e32 v12, 0
	s_and_saveexec_b64 s[16:17], vcc
	s_cbranch_execz .LBB18_923
; %bb.914:                              ;   in Loop: Header=BB18_911 Depth=1
	v_bfe_u32 v16, v14, 23, 8
	v_sub_u32_e32 v11, 0x79, v16
	v_cmp_gt_u32_e32 vcc, s28, v16
	v_cndmask_b32_e32 v11, 0, v11, vcc
	v_cmp_eq_u32_e32 vcc, 0, v16
	v_cndmask_b32_e32 v17, v11, v19, vcc
	v_and_b32_e32 v5, 0x7fffff, v14
	v_add_u32_e32 v11, 20, v17
	v_or_b32_e32 v14, 0x800000, v5
	v_lshlrev_b64 v[11:12], v11, -1
	v_cndmask_b32_e32 v5, v14, v5, vcc
	v_bfi_b32 v14, v11, 0, v5
	v_add_u32_e32 v11, 19, v17
	v_bfi_b32 v15, v12, 0, 0
	v_lshlrev_b64 v[22:23], v11, 1
	v_lshrrev_b64 v[11:12], v17, v[5:6]
	v_cmp_eq_u64_e64 s[0:1], v[14:15], v[22:23]
	v_mov_b32_e32 v15, v12
	v_mov_b32_e32 v14, v11
	s_and_saveexec_b64 s[18:19], s[0:1]
; %bb.915:                              ;   in Loop: Header=BB18_911 Depth=1
	v_bfe_u32 v5, v11, 20, 1
	v_add_co_u32_e64 v5, s[0:1], v11, v5
	v_add_co_u32_e64 v14, s[0:1], -1, v5
; %bb.916:                              ;   in Loop: Header=BB18_911 Depth=1
	s_or_b64 exec, exec, s[18:19]
	v_add_u32_e32 v5, 0xffffff81, v16
	v_cndmask_b32_e32 v5, v5, v20, vcc
	v_lshrrev_b32_e32 v12, 23, v11
	v_add3_u32 v17, v17, v5, v12
	v_add_u32_e32 v15, 6, v17
	v_and_b32_e32 v5, 0xfffff, v14
	v_add_u32_e32 v5, v5, v11
	v_cmp_ne_u32_e32 vcc, 0, v15
                                        ; implicit-def: $vgpr11_vgpr12
                                        ; implicit-def: $vgpr16
	s_and_saveexec_b64 s[0:1], vcc
	s_xor_b64 s[0:1], exec, s[0:1]
; %bb.917:                              ;   in Loop: Header=BB18_911 Depth=1
	v_cmp_lt_u64_e32 vcc, s[10:11], v[5:6]
	v_add_u32_e32 v11, 7, v17
	v_cndmask_b32_e32 v16, v15, v11, vcc
	v_cndmask_b32_e64 v11, 0, 1, vcc
	v_lshrrev_b64 v[11:12], v11, v[5:6]
; %bb.918:                              ;   in Loop: Header=BB18_911 Depth=1
	s_andn2_saveexec_b64 s[0:1], s[0:1]
; %bb.919:                              ;   in Loop: Header=BB18_911 Depth=1
	v_mov_b32_e32 v12, v6
	v_bfe_u32 v16, v5, 23, 1
	v_mov_b32_e32 v11, v5
; %bb.920:                              ;   in Loop: Header=BB18_911 Depth=1
	s_or_b64 exec, exec, s[0:1]
	v_lshrrev_b64 v[11:12], 20, v[11:12]
	v_cmp_gt_i32_e32 vcc, 16, v16
	v_cndmask_b32_e32 v15, 0, v12, vcc
	v_cndmask_b32_e32 v14, 7, v11, vcc
	v_cmp_ne_u64_e32 vcc, 0, v[14:15]
	v_cmp_ne_u32_e64 s[0:1], 0, v16
	s_or_b64 s[0:1], s[0:1], vcc
	v_mov_b32_e32 v11, v13
	v_mov_b32_e32 v12, v14
	s_and_saveexec_b64 s[18:19], s[0:1]
	s_xor_b64 s[0:1], exec, s[18:19]
; %bb.921:                              ;   in Loop: Header=BB18_911 Depth=1
	v_min_i32_e32 v5, 15, v16
	v_lshl_or_b32 v5, v5, 3, v13
	v_and_or_b32 v11, v14, 7, v5
; %bb.922:                              ;   in Loop: Header=BB18_911 Depth=1
	s_andn2_saveexec_b64 s[0:1], s[0:1]
	s_or_b64 exec, exec, s[0:1]
.LBB18_923:                             ;   in Loop: Header=BB18_911 Depth=1
	s_or_b64 exec, exec, s[16:17]
                                        ; implicit-def: $vgpr13
.LBB18_924:                             ;   in Loop: Header=BB18_911 Depth=1
	s_andn2_saveexec_b64 s[0:1], s[14:15]
; %bb.925:                              ;   in Loop: Header=BB18_911 Depth=1
	v_or_b32_e32 v11, 0x7e, v13
; %bb.926:                              ;   in Loop: Header=BB18_911 Depth=1
	s_or_b64 exec, exec, s[0:1]
                                        ; implicit-def: $vgpr14
.LBB18_927:                             ;   in Loop: Header=BB18_911 Depth=1
	s_andn2_saveexec_b64 s[0:1], s[12:13]
; %bb.928:                              ;   in Loop: Header=BB18_911 Depth=1
	v_or_b32_sdwa v11, v14, s29 dst_sel:DWORD dst_unused:UNUSED_PAD src0_sel:BYTE_3 src1_sel:DWORD
; %bb.929:                              ;   in Loop: Header=BB18_911 Depth=1
	s_or_b64 exec, exec, s[0:1]
	v_cvt_f32_f16_sdwa v1, v1 dst_sel:DWORD dst_unused:UNUSED_PAD src0_sel:WORD_1
	v_div_scale_f32 v5, s[0:1], s71, s71, v1
	v_div_scale_f32 v12, vcc, v1, s71, v1
	v_rcp_f32_e32 v13, v5
	v_fma_f32 v14, -v5, v13, 1.0
	v_fmac_f32_e32 v13, v14, v13
	v_mul_f32_e32 v14, v12, v13
	v_fma_f32 v15, -v5, v14, v12
	v_fmac_f32_e32 v14, v15, v13
	v_fma_f32 v5, -v5, v14, v12
	v_div_fmas_f32 v5, v5, v13, v14
                                        ; implicit-def: $vgpr12_vgpr13
	v_div_fixup_f32 v1, v5, s71, v1
	v_cvt_f16_f32_e32 v1, v1
	v_cvt_f32_f16_e32 v14, v1
	v_and_b32_e32 v5, 0x7f800000, v14
	v_cmp_ne_u64_e32 vcc, s[6:7], v[5:6]
	s_and_saveexec_b64 s[0:1], vcc
	s_xor_b64 s[12:13], exec, s[0:1]
	s_cbranch_execz .LBB18_945
; %bb.930:                              ;   in Loop: Header=BB18_911 Depth=1
	v_and_b32_e32 v5, 0x7fffffff, v14
	v_cmp_gt_u64_e32 vcc, s[8:9], v[5:6]
	v_and_b32_sdwa v1, v14, s25 dst_sel:DWORD dst_unused:UNUSED_PAD src0_sel:BYTE_3 src1_sel:DWORD
                                        ; implicit-def: $vgpr12_vgpr13
	s_and_saveexec_b64 s[0:1], vcc
	s_xor_b64 s[14:15], exec, s[0:1]
	s_cbranch_execz .LBB18_942
; %bb.931:                              ;   in Loop: Header=BB18_911 Depth=1
	v_mov_b32_e32 v12, 0
	v_cmp_ne_u32_e32 vcc, 0, v14
	v_mov_b32_e32 v13, 0
	s_and_saveexec_b64 s[16:17], vcc
	s_cbranch_execz .LBB18_941
; %bb.932:                              ;   in Loop: Header=BB18_911 Depth=1
	v_bfe_u32 v15, v14, 23, 8
	v_sub_u32_e32 v12, 0x79, v15
	v_cmp_gt_u32_e32 vcc, s28, v15
	v_cndmask_b32_e32 v12, 0, v12, vcc
	v_cmp_eq_u32_e32 vcc, 0, v15
	v_cndmask_b32_e32 v16, v12, v19, vcc
	v_and_b32_e32 v5, 0x7fffff, v14
	v_add_u32_e32 v12, 20, v16
	v_or_b32_e32 v14, 0x800000, v5
	v_lshlrev_b64 v[12:13], v12, -1
	v_cndmask_b32_e32 v5, v14, v5, vcc
	v_bfi_b32 v17, v12, 0, v5
	v_add_u32_e32 v12, 19, v16
	v_bfi_b32 v18, v13, 0, 0
	v_lshlrev_b64 v[22:23], v12, 1
	v_lshrrev_b64 v[12:13], v16, v[5:6]
	v_cmp_eq_u64_e64 s[0:1], v[17:18], v[22:23]
	v_mov_b32_e32 v14, v13
	v_mov_b32_e32 v13, v12
	s_and_saveexec_b64 s[18:19], s[0:1]
; %bb.933:                              ;   in Loop: Header=BB18_911 Depth=1
	v_bfe_u32 v5, v12, 20, 1
	v_add_co_u32_e64 v5, s[0:1], v12, v5
	v_add_co_u32_e64 v13, s[0:1], -1, v5
; %bb.934:                              ;   in Loop: Header=BB18_911 Depth=1
	s_or_b64 exec, exec, s[18:19]
	v_add_u32_e32 v5, 0xffffff81, v15
	v_cndmask_b32_e32 v5, v5, v20, vcc
	v_lshrrev_b32_e32 v14, 23, v12
	v_add3_u32 v15, v16, v5, v14
	v_add_u32_e32 v14, 6, v15
	v_and_b32_e32 v5, 0xfffff, v13
	v_add_u32_e32 v5, v5, v12
	v_cmp_ne_u32_e32 vcc, 0, v14
                                        ; implicit-def: $vgpr12_vgpr13
                                        ; implicit-def: $vgpr16
	s_and_saveexec_b64 s[0:1], vcc
	s_xor_b64 s[0:1], exec, s[0:1]
; %bb.935:                              ;   in Loop: Header=BB18_911 Depth=1
	v_cmp_lt_u64_e32 vcc, s[10:11], v[5:6]
	v_add_u32_e32 v12, 7, v15
	v_cndmask_b32_e32 v16, v14, v12, vcc
	v_cndmask_b32_e64 v12, 0, 1, vcc
	v_lshrrev_b64 v[12:13], v12, v[5:6]
; %bb.936:                              ;   in Loop: Header=BB18_911 Depth=1
	s_andn2_saveexec_b64 s[0:1], s[0:1]
; %bb.937:                              ;   in Loop: Header=BB18_911 Depth=1
	v_mov_b32_e32 v13, v6
	v_bfe_u32 v16, v5, 23, 1
	v_mov_b32_e32 v12, v5
; %bb.938:                              ;   in Loop: Header=BB18_911 Depth=1
	s_or_b64 exec, exec, s[0:1]
	v_lshrrev_b64 v[12:13], 20, v[12:13]
	v_cmp_gt_i32_e32 vcc, 16, v16
	v_cndmask_b32_e32 v15, 0, v13, vcc
	v_cndmask_b32_e32 v14, 7, v12, vcc
	v_cmp_ne_u64_e32 vcc, 0, v[14:15]
	v_cmp_ne_u32_e64 s[0:1], 0, v16
	v_mov_b32_e32 v13, v2
	s_or_b64 s[0:1], s[0:1], vcc
	v_mov_b32_e32 v12, v1
	s_and_saveexec_b64 s[18:19], s[0:1]
	s_xor_b64 s[0:1], exec, s[18:19]
; %bb.939:                              ;   in Loop: Header=BB18_911 Depth=1
	v_min_i32_e32 v5, 15, v16
	v_lshl_or_b32 v1, v5, 3, v1
	v_and_or_b32 v12, v14, 7, v1
; %bb.940:                              ;   in Loop: Header=BB18_911 Depth=1
	s_andn2_saveexec_b64 s[0:1], s[0:1]
	s_or_b64 exec, exec, s[0:1]
.LBB18_941:                             ;   in Loop: Header=BB18_911 Depth=1
	s_or_b64 exec, exec, s[16:17]
                                        ; implicit-def: $vgpr1
.LBB18_942:                             ;   in Loop: Header=BB18_911 Depth=1
	s_andn2_saveexec_b64 s[0:1], s[14:15]
; %bb.943:                              ;   in Loop: Header=BB18_911 Depth=1
	v_or_b32_e32 v12, 0x7e, v1
; %bb.944:                              ;   in Loop: Header=BB18_911 Depth=1
	s_or_b64 exec, exec, s[0:1]
                                        ; implicit-def: $vgpr14
.LBB18_945:                             ;   in Loop: Header=BB18_911 Depth=1
	s_andn2_saveexec_b64 s[0:1], s[12:13]
; %bb.946:                              ;   in Loop: Header=BB18_911 Depth=1
	v_or_b32_sdwa v12, v14, s29 dst_sel:DWORD dst_unused:UNUSED_PAD src0_sel:BYTE_3 src1_sel:DWORD
; %bb.947:                              ;   in Loop: Header=BB18_911 Depth=1
	s_or_b64 exec, exec, s[0:1]
	v_cvt_f32_f16_e32 v1, v2
	v_div_scale_f32 v5, s[0:1], s71, s71, v1
	v_div_scale_f32 v13, vcc, v1, s71, v1
	v_rcp_f32_e32 v14, v5
	v_fma_f32 v15, -v5, v14, 1.0
	v_fmac_f32_e32 v14, v15, v14
	v_mul_f32_e32 v15, v13, v14
	v_fma_f32 v16, -v5, v15, v13
	v_fmac_f32_e32 v15, v16, v14
	v_fma_f32 v5, -v5, v15, v13
	v_div_fmas_f32 v5, v5, v14, v15
                                        ; implicit-def: $vgpr13_vgpr14
	v_div_fixup_f32 v1, v5, s71, v1
	v_cvt_f16_f32_e32 v1, v1
	v_cvt_f32_f16_e32 v15, v1
	v_and_b32_e32 v5, 0x7f800000, v15
	v_cmp_ne_u64_e32 vcc, s[6:7], v[5:6]
	s_and_saveexec_b64 s[0:1], vcc
	s_xor_b64 s[12:13], exec, s[0:1]
	s_cbranch_execz .LBB18_963
; %bb.948:                              ;   in Loop: Header=BB18_911 Depth=1
	v_and_b32_e32 v5, 0x7fffffff, v15
	v_cmp_gt_u64_e32 vcc, s[8:9], v[5:6]
	v_and_b32_sdwa v1, v15, s25 dst_sel:DWORD dst_unused:UNUSED_PAD src0_sel:BYTE_3 src1_sel:DWORD
                                        ; implicit-def: $vgpr13_vgpr14
	s_and_saveexec_b64 s[0:1], vcc
	s_xor_b64 s[14:15], exec, s[0:1]
	s_cbranch_execz .LBB18_960
; %bb.949:                              ;   in Loop: Header=BB18_911 Depth=1
	v_mov_b32_e32 v13, 0
	v_cmp_ne_u32_e32 vcc, 0, v15
	v_mov_b32_e32 v14, 0
	s_and_saveexec_b64 s[16:17], vcc
	s_cbranch_execz .LBB18_959
; %bb.950:                              ;   in Loop: Header=BB18_911 Depth=1
	v_bfe_u32 v16, v15, 23, 8
	v_sub_u32_e32 v13, 0x79, v16
	v_cmp_gt_u32_e32 vcc, s28, v16
	v_cndmask_b32_e32 v13, 0, v13, vcc
	v_cmp_eq_u32_e32 vcc, 0, v16
	v_cndmask_b32_e32 v17, v13, v19, vcc
	v_and_b32_e32 v5, 0x7fffff, v15
	v_add_u32_e32 v13, 20, v17
	v_or_b32_e32 v15, 0x800000, v5
	v_lshlrev_b64 v[13:14], v13, -1
	v_cndmask_b32_e32 v5, v15, v5, vcc
	v_bfi_b32 v22, v13, 0, v5
	v_add_u32_e32 v13, 19, v17
	v_bfi_b32 v23, v14, 0, 0
	v_lshlrev_b64 v[24:25], v13, 1
	v_lshrrev_b64 v[13:14], v17, v[5:6]
	v_cmp_eq_u64_e64 s[0:1], v[22:23], v[24:25]
	v_mov_b32_e32 v15, v14
	v_mov_b32_e32 v14, v13
	s_and_saveexec_b64 s[18:19], s[0:1]
; %bb.951:                              ;   in Loop: Header=BB18_911 Depth=1
	v_bfe_u32 v5, v13, 20, 1
	v_add_co_u32_e64 v5, s[0:1], v13, v5
	v_add_co_u32_e64 v14, s[0:1], -1, v5
; %bb.952:                              ;   in Loop: Header=BB18_911 Depth=1
	s_or_b64 exec, exec, s[18:19]
	v_add_u32_e32 v5, 0xffffff81, v16
	v_cndmask_b32_e32 v5, v5, v20, vcc
	v_lshrrev_b32_e32 v15, 23, v13
	v_add3_u32 v16, v17, v5, v15
	v_add_u32_e32 v15, 6, v16
	v_and_b32_e32 v5, 0xfffff, v14
	v_add_u32_e32 v5, v5, v13
	v_cmp_ne_u32_e32 vcc, 0, v15
                                        ; implicit-def: $vgpr13_vgpr14
                                        ; implicit-def: $vgpr17
	s_and_saveexec_b64 s[0:1], vcc
	s_xor_b64 s[0:1], exec, s[0:1]
; %bb.953:                              ;   in Loop: Header=BB18_911 Depth=1
	v_cmp_lt_u64_e32 vcc, s[10:11], v[5:6]
	v_add_u32_e32 v13, 7, v16
	v_cndmask_b32_e32 v17, v15, v13, vcc
	v_cndmask_b32_e64 v13, 0, 1, vcc
	v_lshrrev_b64 v[13:14], v13, v[5:6]
; %bb.954:                              ;   in Loop: Header=BB18_911 Depth=1
	s_andn2_saveexec_b64 s[0:1], s[0:1]
; %bb.955:                              ;   in Loop: Header=BB18_911 Depth=1
	v_mov_b32_e32 v14, v6
	v_bfe_u32 v17, v5, 23, 1
	v_mov_b32_e32 v13, v5
; %bb.956:                              ;   in Loop: Header=BB18_911 Depth=1
	s_or_b64 exec, exec, s[0:1]
	v_lshrrev_b64 v[13:14], 20, v[13:14]
	v_cmp_gt_i32_e32 vcc, 16, v17
	v_cndmask_b32_e32 v16, 0, v14, vcc
	v_cndmask_b32_e32 v15, 7, v13, vcc
	v_cmp_ne_u64_e32 vcc, 0, v[15:16]
	v_cmp_ne_u32_e64 s[0:1], 0, v17
	v_mov_b32_e32 v14, v2
	s_or_b64 s[0:1], s[0:1], vcc
	v_mov_b32_e32 v13, v1
	s_and_saveexec_b64 s[18:19], s[0:1]
	s_xor_b64 s[0:1], exec, s[18:19]
; %bb.957:                              ;   in Loop: Header=BB18_911 Depth=1
	v_min_i32_e32 v5, 15, v17
	v_lshl_or_b32 v1, v5, 3, v1
	v_and_or_b32 v13, v15, 7, v1
; %bb.958:                              ;   in Loop: Header=BB18_911 Depth=1
	s_andn2_saveexec_b64 s[0:1], s[0:1]
	s_or_b64 exec, exec, s[0:1]
.LBB18_959:                             ;   in Loop: Header=BB18_911 Depth=1
	s_or_b64 exec, exec, s[16:17]
                                        ; implicit-def: $vgpr1
.LBB18_960:                             ;   in Loop: Header=BB18_911 Depth=1
	s_andn2_saveexec_b64 s[0:1], s[14:15]
; %bb.961:                              ;   in Loop: Header=BB18_911 Depth=1
	v_or_b32_e32 v13, 0x7e, v1
; %bb.962:                              ;   in Loop: Header=BB18_911 Depth=1
	s_or_b64 exec, exec, s[0:1]
                                        ; implicit-def: $vgpr15
.LBB18_963:                             ;   in Loop: Header=BB18_911 Depth=1
	s_andn2_saveexec_b64 s[0:1], s[12:13]
; %bb.964:                              ;   in Loop: Header=BB18_911 Depth=1
	v_or_b32_sdwa v13, v15, s29 dst_sel:DWORD dst_unused:UNUSED_PAD src0_sel:BYTE_3 src1_sel:DWORD
; %bb.965:                              ;   in Loop: Header=BB18_911 Depth=1
	s_or_b64 exec, exec, s[0:1]
	v_cvt_f32_f16_sdwa v1, v2 dst_sel:DWORD dst_unused:UNUSED_PAD src0_sel:WORD_1
	v_div_scale_f32 v2, s[0:1], s71, s71, v1
	v_div_scale_f32 v5, vcc, v1, s71, v1
	v_rcp_f32_e32 v14, v2
	v_fma_f32 v15, -v2, v14, 1.0
	v_fmac_f32_e32 v14, v15, v14
	v_mul_f32_e32 v15, v5, v14
	v_fma_f32 v16, -v2, v15, v5
	v_fmac_f32_e32 v15, v16, v14
	v_fma_f32 v2, -v2, v15, v5
	v_div_fmas_f32 v2, v2, v14, v15
	v_div_fixup_f32 v1, v2, s71, v1
	v_cvt_f16_f32_e32 v1, v1
	v_cvt_f32_f16_e32 v15, v1
                                        ; implicit-def: $vgpr1_vgpr2
	v_and_b32_e32 v5, 0x7f800000, v15
	v_cmp_ne_u64_e32 vcc, s[6:7], v[5:6]
	s_and_saveexec_b64 s[0:1], vcc
	s_xor_b64 s[12:13], exec, s[0:1]
	s_cbranch_execz .LBB18_981
; %bb.966:                              ;   in Loop: Header=BB18_911 Depth=1
	v_and_b32_e32 v5, 0x7fffffff, v15
	v_cmp_gt_u64_e32 vcc, s[8:9], v[5:6]
	v_and_b32_sdwa v14, v15, s25 dst_sel:DWORD dst_unused:UNUSED_PAD src0_sel:BYTE_3 src1_sel:DWORD
                                        ; implicit-def: $vgpr1_vgpr2
	s_and_saveexec_b64 s[0:1], vcc
	s_xor_b64 s[14:15], exec, s[0:1]
	s_cbranch_execz .LBB18_978
; %bb.967:                              ;   in Loop: Header=BB18_911 Depth=1
	v_mov_b32_e32 v1, 0
	v_cmp_ne_u32_e32 vcc, 0, v15
	v_mov_b32_e32 v2, 0
	s_and_saveexec_b64 s[16:17], vcc
	s_cbranch_execz .LBB18_977
; %bb.968:                              ;   in Loop: Header=BB18_911 Depth=1
	v_bfe_u32 v17, v15, 23, 8
	v_sub_u32_e32 v1, 0x79, v17
	v_cmp_gt_u32_e32 vcc, s28, v17
	v_cndmask_b32_e32 v1, 0, v1, vcc
	v_cmp_eq_u32_e32 vcc, 0, v17
	v_cndmask_b32_e32 v18, v1, v19, vcc
	v_and_b32_e32 v5, 0x7fffff, v15
	v_add_u32_e32 v1, 20, v18
	v_or_b32_e32 v15, 0x800000, v5
	v_lshlrev_b64 v[1:2], v1, -1
	v_cndmask_b32_e32 v5, v15, v5, vcc
	v_bfi_b32 v15, v1, 0, v5
	v_add_u32_e32 v1, 19, v18
	v_bfi_b32 v16, v2, 0, 0
	v_lshlrev_b64 v[22:23], v1, 1
	v_lshrrev_b64 v[1:2], v18, v[5:6]
	v_cmp_eq_u64_e64 s[0:1], v[15:16], v[22:23]
	v_mov_b32_e32 v16, v2
	v_mov_b32_e32 v15, v1
	s_and_saveexec_b64 s[18:19], s[0:1]
; %bb.969:                              ;   in Loop: Header=BB18_911 Depth=1
	v_bfe_u32 v2, v1, 20, 1
	v_add_co_u32_e64 v2, s[0:1], v1, v2
	v_add_co_u32_e64 v15, s[0:1], -1, v2
; %bb.970:                              ;   in Loop: Header=BB18_911 Depth=1
	s_or_b64 exec, exec, s[18:19]
	v_add_u32_e32 v2, 0xffffff81, v17
	v_cndmask_b32_e32 v2, v2, v20, vcc
	v_lshrrev_b32_e32 v5, 23, v1
	v_add3_u32 v18, v18, v2, v5
	v_add_u32_e32 v16, 6, v18
	v_and_b32_e32 v2, 0xfffff, v15
	v_add_u32_e32 v5, v2, v1
	v_cmp_ne_u32_e32 vcc, 0, v16
                                        ; implicit-def: $vgpr1_vgpr2
                                        ; implicit-def: $vgpr17
	s_and_saveexec_b64 s[0:1], vcc
	s_xor_b64 s[0:1], exec, s[0:1]
; %bb.971:                              ;   in Loop: Header=BB18_911 Depth=1
	v_cmp_lt_u64_e32 vcc, s[10:11], v[5:6]
	v_add_u32_e32 v1, 7, v18
	v_cndmask_b32_e32 v17, v16, v1, vcc
	v_cndmask_b32_e64 v1, 0, 1, vcc
	v_lshrrev_b64 v[1:2], v1, v[5:6]
; %bb.972:                              ;   in Loop: Header=BB18_911 Depth=1
	s_andn2_saveexec_b64 s[0:1], s[0:1]
; %bb.973:                              ;   in Loop: Header=BB18_911 Depth=1
	v_mov_b32_e32 v1, v5
	v_bfe_u32 v17, v5, 23, 1
	v_mov_b32_e32 v2, v6
; %bb.974:                              ;   in Loop: Header=BB18_911 Depth=1
	s_or_b64 exec, exec, s[0:1]
	v_lshrrev_b64 v[1:2], 20, v[1:2]
	v_cmp_gt_i32_e32 vcc, 16, v17
	v_cndmask_b32_e32 v16, 0, v2, vcc
	v_cndmask_b32_e32 v15, 7, v1, vcc
	v_cmp_ne_u64_e32 vcc, 0, v[15:16]
	v_cmp_ne_u32_e64 s[0:1], 0, v17
	s_or_b64 s[0:1], s[0:1], vcc
	v_mov_b32_e32 v1, v14
	v_mov_b32_e32 v2, v15
	s_and_saveexec_b64 s[18:19], s[0:1]
	s_xor_b64 s[0:1], exec, s[18:19]
; %bb.975:                              ;   in Loop: Header=BB18_911 Depth=1
	v_min_i32_e32 v1, 15, v17
	v_lshl_or_b32 v1, v1, 3, v14
	v_and_or_b32 v1, v15, 7, v1
; %bb.976:                              ;   in Loop: Header=BB18_911 Depth=1
	s_andn2_saveexec_b64 s[0:1], s[0:1]
	s_or_b64 exec, exec, s[0:1]
.LBB18_977:                             ;   in Loop: Header=BB18_911 Depth=1
	s_or_b64 exec, exec, s[16:17]
                                        ; implicit-def: $vgpr14
.LBB18_978:                             ;   in Loop: Header=BB18_911 Depth=1
	s_andn2_saveexec_b64 s[0:1], s[14:15]
; %bb.979:                              ;   in Loop: Header=BB18_911 Depth=1
	v_or_b32_e32 v1, 0x7e, v14
; %bb.980:                              ;   in Loop: Header=BB18_911 Depth=1
	s_or_b64 exec, exec, s[0:1]
                                        ; implicit-def: $vgpr15
.LBB18_981:                             ;   in Loop: Header=BB18_911 Depth=1
	s_andn2_saveexec_b64 s[0:1], s[12:13]
; %bb.982:                              ;   in Loop: Header=BB18_911 Depth=1
	v_or_b32_sdwa v1, v15, s29 dst_sel:DWORD dst_unused:UNUSED_PAD src0_sel:BYTE_3 src1_sel:DWORD
; %bb.983:                              ;   in Loop: Header=BB18_911 Depth=1
	s_or_b64 exec, exec, s[0:1]
	v_cvt_f32_f16_e32 v2, v3
	v_div_scale_f32 v5, s[0:1], s71, s71, v2
	v_div_scale_f32 v14, vcc, v2, s71, v2
	v_rcp_f32_e32 v15, v5
	v_fma_f32 v16, -v5, v15, 1.0
	v_fmac_f32_e32 v15, v16, v15
	v_mul_f32_e32 v16, v14, v15
	v_fma_f32 v17, -v5, v16, v14
	v_fmac_f32_e32 v16, v17, v15
	v_fma_f32 v5, -v5, v16, v14
	v_div_fmas_f32 v5, v5, v15, v16
                                        ; implicit-def: $vgpr14_vgpr15
	v_div_fixup_f32 v2, v5, s71, v2
	v_cvt_f16_f32_e32 v2, v2
	v_cvt_f32_f16_e32 v16, v2
	v_and_b32_e32 v5, 0x7f800000, v16
	v_cmp_ne_u64_e32 vcc, s[6:7], v[5:6]
	s_and_saveexec_b64 s[0:1], vcc
	s_xor_b64 s[12:13], exec, s[0:1]
	s_cbranch_execz .LBB18_999
; %bb.984:                              ;   in Loop: Header=BB18_911 Depth=1
	v_and_b32_e32 v5, 0x7fffffff, v16
	v_cmp_gt_u64_e32 vcc, s[8:9], v[5:6]
	v_and_b32_sdwa v2, v16, s25 dst_sel:DWORD dst_unused:UNUSED_PAD src0_sel:BYTE_3 src1_sel:DWORD
                                        ; implicit-def: $vgpr14_vgpr15
	s_and_saveexec_b64 s[0:1], vcc
	s_xor_b64 s[14:15], exec, s[0:1]
	s_cbranch_execz .LBB18_996
; %bb.985:                              ;   in Loop: Header=BB18_911 Depth=1
	v_mov_b32_e32 v14, 0
	v_cmp_ne_u32_e32 vcc, 0, v16
	v_mov_b32_e32 v15, 0
	s_and_saveexec_b64 s[16:17], vcc
	s_cbranch_execz .LBB18_995
; %bb.986:                              ;   in Loop: Header=BB18_911 Depth=1
	v_bfe_u32 v17, v16, 23, 8
	v_sub_u32_e32 v14, 0x79, v17
	v_cmp_gt_u32_e32 vcc, s28, v17
	v_cndmask_b32_e32 v14, 0, v14, vcc
	v_cmp_eq_u32_e32 vcc, 0, v17
	v_cndmask_b32_e32 v18, v14, v19, vcc
	v_and_b32_e32 v5, 0x7fffff, v16
	v_add_u32_e32 v14, 20, v18
	v_or_b32_e32 v16, 0x800000, v5
	v_lshlrev_b64 v[14:15], v14, -1
	v_cndmask_b32_e32 v5, v16, v5, vcc
	v_bfi_b32 v22, v14, 0, v5
	v_add_u32_e32 v14, 19, v18
	v_bfi_b32 v23, v15, 0, 0
	v_lshlrev_b64 v[24:25], v14, 1
	v_lshrrev_b64 v[14:15], v18, v[5:6]
	v_cmp_eq_u64_e64 s[0:1], v[22:23], v[24:25]
	v_mov_b32_e32 v16, v15
	v_mov_b32_e32 v15, v14
	s_and_saveexec_b64 s[18:19], s[0:1]
; %bb.987:                              ;   in Loop: Header=BB18_911 Depth=1
	v_bfe_u32 v5, v14, 20, 1
	v_add_co_u32_e64 v5, s[0:1], v14, v5
	v_add_co_u32_e64 v15, s[0:1], -1, v5
; %bb.988:                              ;   in Loop: Header=BB18_911 Depth=1
	s_or_b64 exec, exec, s[18:19]
	v_add_u32_e32 v5, 0xffffff81, v17
	v_cndmask_b32_e32 v5, v5, v20, vcc
	v_lshrrev_b32_e32 v16, 23, v14
	v_add3_u32 v17, v18, v5, v16
	v_add_u32_e32 v16, 6, v17
	v_and_b32_e32 v5, 0xfffff, v15
	v_add_u32_e32 v5, v5, v14
	v_cmp_ne_u32_e32 vcc, 0, v16
                                        ; implicit-def: $vgpr14_vgpr15
                                        ; implicit-def: $vgpr18
	s_and_saveexec_b64 s[0:1], vcc
	s_xor_b64 s[0:1], exec, s[0:1]
; %bb.989:                              ;   in Loop: Header=BB18_911 Depth=1
	v_cmp_lt_u64_e32 vcc, s[10:11], v[5:6]
	v_add_u32_e32 v14, 7, v17
	v_cndmask_b32_e32 v18, v16, v14, vcc
	v_cndmask_b32_e64 v14, 0, 1, vcc
	v_lshrrev_b64 v[14:15], v14, v[5:6]
; %bb.990:                              ;   in Loop: Header=BB18_911 Depth=1
	s_andn2_saveexec_b64 s[0:1], s[0:1]
; %bb.991:                              ;   in Loop: Header=BB18_911 Depth=1
	v_mov_b32_e32 v15, v6
	v_bfe_u32 v18, v5, 23, 1
	v_mov_b32_e32 v14, v5
; %bb.992:                              ;   in Loop: Header=BB18_911 Depth=1
	s_or_b64 exec, exec, s[0:1]
	v_lshrrev_b64 v[14:15], 20, v[14:15]
	v_cmp_gt_i32_e32 vcc, 16, v18
	v_cndmask_b32_e32 v17, 0, v15, vcc
	v_cndmask_b32_e32 v16, 7, v14, vcc
	v_cmp_ne_u64_e32 vcc, 0, v[16:17]
	v_cmp_ne_u32_e64 s[0:1], 0, v18
	v_mov_b32_e32 v15, v3
	s_or_b64 s[0:1], s[0:1], vcc
	v_mov_b32_e32 v14, v2
	s_and_saveexec_b64 s[18:19], s[0:1]
	s_xor_b64 s[0:1], exec, s[18:19]
; %bb.993:                              ;   in Loop: Header=BB18_911 Depth=1
	v_min_i32_e32 v5, 15, v18
	v_lshl_or_b32 v2, v5, 3, v2
	v_and_or_b32 v14, v16, 7, v2
; %bb.994:                              ;   in Loop: Header=BB18_911 Depth=1
	s_andn2_saveexec_b64 s[0:1], s[0:1]
	s_or_b64 exec, exec, s[0:1]
.LBB18_995:                             ;   in Loop: Header=BB18_911 Depth=1
	s_or_b64 exec, exec, s[16:17]
                                        ; implicit-def: $vgpr2
.LBB18_996:                             ;   in Loop: Header=BB18_911 Depth=1
	s_andn2_saveexec_b64 s[0:1], s[14:15]
; %bb.997:                              ;   in Loop: Header=BB18_911 Depth=1
	v_or_b32_e32 v14, 0x7e, v2
; %bb.998:                              ;   in Loop: Header=BB18_911 Depth=1
	s_or_b64 exec, exec, s[0:1]
                                        ; implicit-def: $vgpr16
.LBB18_999:                             ;   in Loop: Header=BB18_911 Depth=1
	s_andn2_saveexec_b64 s[0:1], s[12:13]
; %bb.1000:                             ;   in Loop: Header=BB18_911 Depth=1
	v_or_b32_sdwa v14, v16, s29 dst_sel:DWORD dst_unused:UNUSED_PAD src0_sel:BYTE_3 src1_sel:DWORD
; %bb.1001:                             ;   in Loop: Header=BB18_911 Depth=1
	s_or_b64 exec, exec, s[0:1]
	v_cvt_f32_f16_sdwa v2, v3 dst_sel:DWORD dst_unused:UNUSED_PAD src0_sel:WORD_1
	v_div_scale_f32 v3, s[0:1], s71, s71, v2
	v_div_scale_f32 v5, vcc, v2, s71, v2
	v_rcp_f32_e32 v15, v3
	v_fma_f32 v16, -v3, v15, 1.0
	v_fmac_f32_e32 v15, v16, v15
	v_mul_f32_e32 v16, v5, v15
	v_fma_f32 v17, -v3, v16, v5
	v_fmac_f32_e32 v16, v17, v15
	v_fma_f32 v3, -v3, v16, v5
	v_div_fmas_f32 v3, v3, v15, v16
	v_div_fixup_f32 v2, v3, s71, v2
	v_cvt_f16_f32_e32 v2, v2
	v_cvt_f32_f16_e32 v16, v2
                                        ; implicit-def: $vgpr2_vgpr3
	v_and_b32_e32 v5, 0x7f800000, v16
	v_cmp_ne_u64_e32 vcc, s[6:7], v[5:6]
	s_and_saveexec_b64 s[0:1], vcc
	s_xor_b64 s[12:13], exec, s[0:1]
	s_cbranch_execz .LBB18_1017
; %bb.1002:                             ;   in Loop: Header=BB18_911 Depth=1
	v_and_b32_e32 v5, 0x7fffffff, v16
	v_cmp_gt_u64_e32 vcc, s[8:9], v[5:6]
	v_and_b32_sdwa v15, v16, s25 dst_sel:DWORD dst_unused:UNUSED_PAD src0_sel:BYTE_3 src1_sel:DWORD
                                        ; implicit-def: $vgpr2_vgpr3
	s_and_saveexec_b64 s[0:1], vcc
	s_xor_b64 s[14:15], exec, s[0:1]
	s_cbranch_execz .LBB18_1014
; %bb.1003:                             ;   in Loop: Header=BB18_911 Depth=1
	v_mov_b32_e32 v2, 0
	v_cmp_ne_u32_e32 vcc, 0, v16
	v_mov_b32_e32 v3, 0
	s_and_saveexec_b64 s[16:17], vcc
	s_cbranch_execz .LBB18_1013
; %bb.1004:                             ;   in Loop: Header=BB18_911 Depth=1
	v_bfe_u32 v18, v16, 23, 8
	v_sub_u32_e32 v2, 0x79, v18
	v_cmp_gt_u32_e32 vcc, s28, v18
	v_cndmask_b32_e32 v2, 0, v2, vcc
	v_cmp_eq_u32_e32 vcc, 0, v18
	v_cndmask_b32_e32 v22, v2, v19, vcc
	v_and_b32_e32 v5, 0x7fffff, v16
	v_add_u32_e32 v2, 20, v22
	v_or_b32_e32 v16, 0x800000, v5
	v_lshlrev_b64 v[2:3], v2, -1
	v_cndmask_b32_e32 v5, v16, v5, vcc
	v_bfi_b32 v16, v2, 0, v5
	v_add_u32_e32 v2, 19, v22
	v_bfi_b32 v17, v3, 0, 0
	v_lshlrev_b64 v[23:24], v2, 1
	v_lshrrev_b64 v[2:3], v22, v[5:6]
	v_cmp_eq_u64_e64 s[0:1], v[16:17], v[23:24]
	v_mov_b32_e32 v17, v3
	v_mov_b32_e32 v16, v2
	s_and_saveexec_b64 s[18:19], s[0:1]
; %bb.1005:                             ;   in Loop: Header=BB18_911 Depth=1
	v_bfe_u32 v3, v2, 20, 1
	v_add_co_u32_e64 v3, s[0:1], v2, v3
	v_add_co_u32_e64 v16, s[0:1], -1, v3
; %bb.1006:                             ;   in Loop: Header=BB18_911 Depth=1
	s_or_b64 exec, exec, s[18:19]
	v_add_u32_e32 v3, 0xffffff81, v18
	v_cndmask_b32_e32 v3, v3, v20, vcc
	v_lshrrev_b32_e32 v5, 23, v2
	v_add3_u32 v22, v22, v3, v5
	v_add_u32_e32 v17, 6, v22
	v_and_b32_e32 v3, 0xfffff, v16
	v_add_u32_e32 v5, v3, v2
	v_cmp_ne_u32_e32 vcc, 0, v17
                                        ; implicit-def: $vgpr2_vgpr3
                                        ; implicit-def: $vgpr18
	s_and_saveexec_b64 s[0:1], vcc
	s_xor_b64 s[0:1], exec, s[0:1]
; %bb.1007:                             ;   in Loop: Header=BB18_911 Depth=1
	v_cmp_lt_u64_e32 vcc, s[10:11], v[5:6]
	v_add_u32_e32 v2, 7, v22
	v_cndmask_b32_e32 v18, v17, v2, vcc
	v_cndmask_b32_e64 v2, 0, 1, vcc
	v_lshrrev_b64 v[2:3], v2, v[5:6]
; %bb.1008:                             ;   in Loop: Header=BB18_911 Depth=1
	s_andn2_saveexec_b64 s[0:1], s[0:1]
; %bb.1009:                             ;   in Loop: Header=BB18_911 Depth=1
	v_mov_b32_e32 v2, v5
	v_bfe_u32 v18, v5, 23, 1
	v_mov_b32_e32 v3, v6
; %bb.1010:                             ;   in Loop: Header=BB18_911 Depth=1
	s_or_b64 exec, exec, s[0:1]
	v_lshrrev_b64 v[2:3], 20, v[2:3]
	v_cmp_gt_i32_e32 vcc, 16, v18
	v_cndmask_b32_e32 v17, 0, v3, vcc
	v_cndmask_b32_e32 v16, 7, v2, vcc
	v_cmp_ne_u64_e32 vcc, 0, v[16:17]
	v_cmp_ne_u32_e64 s[0:1], 0, v18
	s_or_b64 s[0:1], s[0:1], vcc
	v_mov_b32_e32 v2, v15
	v_mov_b32_e32 v3, v16
	s_and_saveexec_b64 s[18:19], s[0:1]
	s_xor_b64 s[0:1], exec, s[18:19]
; %bb.1011:                             ;   in Loop: Header=BB18_911 Depth=1
	v_min_i32_e32 v2, 15, v18
	v_lshl_or_b32 v2, v2, 3, v15
	v_and_or_b32 v2, v16, 7, v2
; %bb.1012:                             ;   in Loop: Header=BB18_911 Depth=1
	s_andn2_saveexec_b64 s[0:1], s[0:1]
	s_or_b64 exec, exec, s[0:1]
.LBB18_1013:                            ;   in Loop: Header=BB18_911 Depth=1
	s_or_b64 exec, exec, s[16:17]
                                        ; implicit-def: $vgpr15
.LBB18_1014:                            ;   in Loop: Header=BB18_911 Depth=1
	s_andn2_saveexec_b64 s[0:1], s[14:15]
; %bb.1015:                             ;   in Loop: Header=BB18_911 Depth=1
	v_or_b32_e32 v2, 0x7e, v15
; %bb.1016:                             ;   in Loop: Header=BB18_911 Depth=1
	s_or_b64 exec, exec, s[0:1]
                                        ; implicit-def: $vgpr16
.LBB18_1017:                            ;   in Loop: Header=BB18_911 Depth=1
	s_andn2_saveexec_b64 s[0:1], s[12:13]
; %bb.1018:                             ;   in Loop: Header=BB18_911 Depth=1
	v_or_b32_sdwa v2, v16, s29 dst_sel:DWORD dst_unused:UNUSED_PAD src0_sel:BYTE_3 src1_sel:DWORD
; %bb.1019:                             ;   in Loop: Header=BB18_911 Depth=1
	s_or_b64 exec, exec, s[0:1]
	v_cvt_f32_f16_e32 v3, v4
	v_div_scale_f32 v5, s[0:1], s71, s71, v3
	v_div_scale_f32 v15, vcc, v3, s71, v3
	v_rcp_f32_e32 v16, v5
	v_fma_f32 v17, -v5, v16, 1.0
	v_fmac_f32_e32 v16, v17, v16
	v_mul_f32_e32 v17, v15, v16
	v_fma_f32 v18, -v5, v17, v15
	v_fmac_f32_e32 v17, v18, v16
	v_fma_f32 v5, -v5, v17, v15
	v_div_fmas_f32 v5, v5, v16, v17
                                        ; implicit-def: $vgpr15_vgpr16
	v_div_fixup_f32 v3, v5, s71, v3
	v_cvt_f16_f32_e32 v3, v3
	v_cvt_f32_f16_e32 v17, v3
	v_and_b32_e32 v5, 0x7f800000, v17
	v_cmp_ne_u64_e32 vcc, s[6:7], v[5:6]
	s_and_saveexec_b64 s[0:1], vcc
	s_xor_b64 s[12:13], exec, s[0:1]
	s_cbranch_execz .LBB18_1035
; %bb.1020:                             ;   in Loop: Header=BB18_911 Depth=1
	v_and_b32_e32 v5, 0x7fffffff, v17
	v_cmp_gt_u64_e32 vcc, s[8:9], v[5:6]
	v_and_b32_sdwa v3, v17, s25 dst_sel:DWORD dst_unused:UNUSED_PAD src0_sel:BYTE_3 src1_sel:DWORD
                                        ; implicit-def: $vgpr15_vgpr16
	s_and_saveexec_b64 s[0:1], vcc
	s_xor_b64 s[14:15], exec, s[0:1]
	s_cbranch_execz .LBB18_1032
; %bb.1021:                             ;   in Loop: Header=BB18_911 Depth=1
	v_mov_b32_e32 v15, 0
	v_cmp_ne_u32_e32 vcc, 0, v17
	v_mov_b32_e32 v16, 0
	s_and_saveexec_b64 s[16:17], vcc
	s_cbranch_execz .LBB18_1031
; %bb.1022:                             ;   in Loop: Header=BB18_911 Depth=1
	v_bfe_u32 v18, v17, 23, 8
	v_sub_u32_e32 v15, 0x79, v18
	v_cmp_gt_u32_e32 vcc, s28, v18
	v_cndmask_b32_e32 v15, 0, v15, vcc
	v_cmp_eq_u32_e32 vcc, 0, v18
	v_cndmask_b32_e32 v22, v15, v19, vcc
	v_and_b32_e32 v5, 0x7fffff, v17
	v_add_u32_e32 v15, 20, v22
	v_or_b32_e32 v17, 0x800000, v5
	v_lshlrev_b64 v[15:16], v15, -1
	v_cndmask_b32_e32 v5, v17, v5, vcc
	v_bfi_b32 v23, v15, 0, v5
	v_add_u32_e32 v15, 19, v22
	v_bfi_b32 v24, v16, 0, 0
	v_lshlrev_b64 v[25:26], v15, 1
	v_lshrrev_b64 v[15:16], v22, v[5:6]
	v_cmp_eq_u64_e64 s[0:1], v[23:24], v[25:26]
	v_mov_b32_e32 v17, v16
	v_mov_b32_e32 v16, v15
	s_and_saveexec_b64 s[18:19], s[0:1]
; %bb.1023:                             ;   in Loop: Header=BB18_911 Depth=1
	v_bfe_u32 v5, v15, 20, 1
	v_add_co_u32_e64 v5, s[0:1], v15, v5
	v_add_co_u32_e64 v16, s[0:1], -1, v5
; %bb.1024:                             ;   in Loop: Header=BB18_911 Depth=1
	s_or_b64 exec, exec, s[18:19]
	v_add_u32_e32 v5, 0xffffff81, v18
	v_cndmask_b32_e32 v5, v5, v20, vcc
	v_lshrrev_b32_e32 v17, 23, v15
	v_add3_u32 v18, v22, v5, v17
	v_add_u32_e32 v17, 6, v18
	v_and_b32_e32 v5, 0xfffff, v16
	v_add_u32_e32 v5, v5, v15
	v_cmp_ne_u32_e32 vcc, 0, v17
                                        ; implicit-def: $vgpr15_vgpr16
                                        ; implicit-def: $vgpr22
	s_and_saveexec_b64 s[0:1], vcc
	s_xor_b64 s[0:1], exec, s[0:1]
; %bb.1025:                             ;   in Loop: Header=BB18_911 Depth=1
	v_cmp_lt_u64_e32 vcc, s[10:11], v[5:6]
	v_add_u32_e32 v15, 7, v18
	v_cndmask_b32_e32 v22, v17, v15, vcc
	v_cndmask_b32_e64 v15, 0, 1, vcc
	v_lshrrev_b64 v[15:16], v15, v[5:6]
; %bb.1026:                             ;   in Loop: Header=BB18_911 Depth=1
	s_andn2_saveexec_b64 s[0:1], s[0:1]
; %bb.1027:                             ;   in Loop: Header=BB18_911 Depth=1
	v_mov_b32_e32 v16, v6
	v_bfe_u32 v22, v5, 23, 1
	v_mov_b32_e32 v15, v5
; %bb.1028:                             ;   in Loop: Header=BB18_911 Depth=1
	s_or_b64 exec, exec, s[0:1]
	v_lshrrev_b64 v[15:16], 20, v[15:16]
	v_cmp_gt_i32_e32 vcc, 16, v22
	v_cndmask_b32_e32 v18, 0, v16, vcc
	v_cndmask_b32_e32 v17, 7, v15, vcc
	v_cmp_ne_u64_e32 vcc, 0, v[17:18]
	v_cmp_ne_u32_e64 s[0:1], 0, v22
	v_mov_b32_e32 v16, v4
	s_or_b64 s[0:1], s[0:1], vcc
	v_mov_b32_e32 v15, v3
	s_and_saveexec_b64 s[18:19], s[0:1]
	s_xor_b64 s[0:1], exec, s[18:19]
; %bb.1029:                             ;   in Loop: Header=BB18_911 Depth=1
	v_min_i32_e32 v5, 15, v22
	v_lshl_or_b32 v3, v5, 3, v3
	v_and_or_b32 v15, v17, 7, v3
; %bb.1030:                             ;   in Loop: Header=BB18_911 Depth=1
	s_andn2_saveexec_b64 s[0:1], s[0:1]
	s_or_b64 exec, exec, s[0:1]
.LBB18_1031:                            ;   in Loop: Header=BB18_911 Depth=1
	s_or_b64 exec, exec, s[16:17]
                                        ; implicit-def: $vgpr3
.LBB18_1032:                            ;   in Loop: Header=BB18_911 Depth=1
	s_andn2_saveexec_b64 s[0:1], s[14:15]
; %bb.1033:                             ;   in Loop: Header=BB18_911 Depth=1
	v_or_b32_e32 v15, 0x7e, v3
; %bb.1034:                             ;   in Loop: Header=BB18_911 Depth=1
	s_or_b64 exec, exec, s[0:1]
                                        ; implicit-def: $vgpr17
.LBB18_1035:                            ;   in Loop: Header=BB18_911 Depth=1
	s_andn2_saveexec_b64 s[0:1], s[12:13]
; %bb.1036:                             ;   in Loop: Header=BB18_911 Depth=1
	v_or_b32_sdwa v15, v17, s29 dst_sel:DWORD dst_unused:UNUSED_PAD src0_sel:BYTE_3 src1_sel:DWORD
; %bb.1037:                             ;   in Loop: Header=BB18_911 Depth=1
	s_or_b64 exec, exec, s[0:1]
	v_cvt_f32_f16_sdwa v3, v4 dst_sel:DWORD dst_unused:UNUSED_PAD src0_sel:WORD_1
	v_div_scale_f32 v4, s[0:1], s71, s71, v3
	v_div_scale_f32 v5, vcc, v3, s71, v3
	v_rcp_f32_e32 v16, v4
	v_fma_f32 v17, -v4, v16, 1.0
	v_fmac_f32_e32 v16, v17, v16
	v_mul_f32_e32 v17, v5, v16
	v_fma_f32 v18, -v4, v17, v5
	v_fmac_f32_e32 v17, v18, v16
	v_fma_f32 v4, -v4, v17, v5
	v_div_fmas_f32 v4, v4, v16, v17
	v_div_fixup_f32 v3, v4, s71, v3
	v_cvt_f16_f32_e32 v3, v3
	v_cvt_f32_f16_e32 v16, v3
	v_and_b32_e32 v5, 0x7f800000, v16
	v_cmp_ne_u64_e32 vcc, s[6:7], v[5:6]
                                        ; implicit-def: $vgpr4_vgpr5
	s_and_saveexec_b64 s[0:1], vcc
	s_xor_b64 s[12:13], exec, s[0:1]
	s_cbranch_execz .LBB18_1053
; %bb.1038:                             ;   in Loop: Header=BB18_911 Depth=1
	v_and_b32_e32 v5, 0x7fffffff, v16
	v_cmp_gt_u64_e32 vcc, s[8:9], v[5:6]
	v_and_b32_sdwa v3, v16, s25 dst_sel:DWORD dst_unused:UNUSED_PAD src0_sel:BYTE_3 src1_sel:DWORD
                                        ; implicit-def: $vgpr4_vgpr5
	s_and_saveexec_b64 s[0:1], vcc
	s_xor_b64 s[14:15], exec, s[0:1]
	s_cbranch_execz .LBB18_1050
; %bb.1039:                             ;   in Loop: Header=BB18_911 Depth=1
	v_mov_b32_e32 v4, 0
	v_cmp_ne_u32_e32 vcc, 0, v16
	v_mov_b32_e32 v5, 0
	s_and_saveexec_b64 s[16:17], vcc
	s_cbranch_execz .LBB18_1049
; %bb.1040:                             ;   in Loop: Header=BB18_911 Depth=1
	v_bfe_u32 v18, v16, 23, 8
	v_sub_u32_e32 v5, 0x79, v18
	v_cmp_gt_u32_e32 vcc, s28, v18
	v_cndmask_b32_e32 v5, 0, v5, vcc
	v_cmp_eq_u32_e32 vcc, 0, v18
	v_cndmask_b32_e32 v22, v5, v19, vcc
	v_and_b32_e32 v4, 0x7fffff, v16
	v_add_u32_e32 v5, 20, v22
	v_or_b32_e32 v23, 0x800000, v4
	v_lshlrev_b64 v[16:17], v5, -1
	v_cndmask_b32_e32 v5, v23, v4, vcc
	v_add_u32_e32 v4, 19, v22
	v_bfi_b32 v16, v16, 0, v5
	v_lshlrev_b64 v[23:24], v4, 1
	v_lshrrev_b64 v[4:5], v22, v[5:6]
	v_bfi_b32 v17, v17, 0, 0
	v_cmp_eq_u64_e64 s[0:1], v[16:17], v[23:24]
	v_mov_b32_e32 v17, v5
	v_mov_b32_e32 v16, v4
	s_and_saveexec_b64 s[18:19], s[0:1]
; %bb.1041:                             ;   in Loop: Header=BB18_911 Depth=1
	v_bfe_u32 v5, v4, 20, 1
	v_add_co_u32_e64 v5, s[0:1], v4, v5
	v_add_co_u32_e64 v16, s[0:1], -1, v5
; %bb.1042:                             ;   in Loop: Header=BB18_911 Depth=1
	s_or_b64 exec, exec, s[18:19]
	v_add_u32_e32 v5, 0xffffff81, v18
	v_cndmask_b32_e32 v5, v5, v20, vcc
	v_lshrrev_b32_e32 v17, 23, v4
	v_add3_u32 v23, v22, v5, v17
	v_add_u32_e32 v22, 6, v23
	v_and_b32_e32 v5, 0xfffff, v16
	v_add_u32_e32 v5, v5, v4
	v_cmp_ne_u32_e32 vcc, 0, v22
                                        ; implicit-def: $vgpr16_vgpr17
                                        ; implicit-def: $vgpr18
	s_and_saveexec_b64 s[0:1], vcc
	s_xor_b64 s[0:1], exec, s[0:1]
; %bb.1043:                             ;   in Loop: Header=BB18_911 Depth=1
	v_cmp_lt_u64_e32 vcc, s[10:11], v[5:6]
	v_add_u32_e32 v4, 7, v23
	v_cndmask_b32_e32 v18, v22, v4, vcc
	v_cndmask_b32_e64 v4, 0, 1, vcc
	v_lshrrev_b64 v[16:17], v4, v[5:6]
; %bb.1044:                             ;   in Loop: Header=BB18_911 Depth=1
	s_andn2_saveexec_b64 s[0:1], s[0:1]
; %bb.1045:                             ;   in Loop: Header=BB18_911 Depth=1
	v_mov_b32_e32 v17, v6
	v_bfe_u32 v18, v5, 23, 1
	v_mov_b32_e32 v16, v5
; %bb.1046:                             ;   in Loop: Header=BB18_911 Depth=1
	s_or_b64 exec, exec, s[0:1]
	v_lshrrev_b64 v[4:5], 20, v[16:17]
	v_cmp_gt_i32_e32 vcc, 16, v18
	v_cndmask_b32_e32 v17, 0, v5, vcc
	v_cndmask_b32_e32 v16, 7, v4, vcc
	v_cmp_ne_u64_e32 vcc, 0, v[16:17]
	v_cmp_ne_u32_e64 s[0:1], 0, v18
	v_mov_b32_e32 v5, v4
	s_or_b64 s[0:1], s[0:1], vcc
	v_mov_b32_e32 v4, v3
	s_and_saveexec_b64 s[18:19], s[0:1]
	s_xor_b64 s[0:1], exec, s[18:19]
; %bb.1047:                             ;   in Loop: Header=BB18_911 Depth=1
	v_min_i32_e32 v4, 15, v18
	v_lshl_or_b32 v3, v4, 3, v3
	v_and_or_b32 v4, v16, 7, v3
; %bb.1048:                             ;   in Loop: Header=BB18_911 Depth=1
	s_andn2_saveexec_b64 s[0:1], s[0:1]
	s_or_b64 exec, exec, s[0:1]
.LBB18_1049:                            ;   in Loop: Header=BB18_911 Depth=1
	s_or_b64 exec, exec, s[16:17]
                                        ; implicit-def: $vgpr3
.LBB18_1050:                            ;   in Loop: Header=BB18_911 Depth=1
	s_andn2_saveexec_b64 s[0:1], s[14:15]
; %bb.1051:                             ;   in Loop: Header=BB18_911 Depth=1
	v_or_b32_e32 v4, 0x7e, v3
; %bb.1052:                             ;   in Loop: Header=BB18_911 Depth=1
	s_or_b64 exec, exec, s[0:1]
                                        ; implicit-def: $vgpr16
.LBB18_1053:                            ;   in Loop: Header=BB18_911 Depth=1
	s_andn2_saveexec_b64 s[0:1], s[12:13]
	s_cbranch_execz .LBB18_910
; %bb.1054:                             ;   in Loop: Header=BB18_911 Depth=1
	v_or_b32_sdwa v4, v16, s29 dst_sel:DWORD dst_unused:UNUSED_PAD src0_sel:BYTE_3 src1_sel:DWORD
	s_branch .LBB18_910
.LBB18_1055:
	s_or_b64 exec, exec, s[2:3]
.LBB18_1056:
	s_and_b32 s0, s67, 15
	s_mov_b32 s1, 0
	s_cmp_lg_u64 s[0:1], 0
	s_cselect_b64 s[2:3], -1, 0
	s_xor_b64 s[4:5], s[22:23], -1
	s_or_b64 s[2:3], s[4:5], s[2:3]
	s_mov_b64 s[0:1], -1
	s_and_b64 vcc, exec, s[2:3]
	s_cbranch_vccz .LBB18_1256
; %bb.1057:
	s_sub_i32 s0, 0, s67
	s_bfe_u32 s0, s0, 0x30001
	s_min_i32 s22, s0, s48
	v_cmp_gt_i32_e32 vcc, s22, v0
	s_and_saveexec_b64 s[2:3], vcc
	s_cbranch_execz .LBB18_1080
; %bb.1058:
	v_mov_b32_e32 v2, 0
	s_add_u32 s0, s26, s34
	v_mov_b32_e32 v1, v2
	v_lshlrev_b32_e32 v3, 1, v0
	s_addc_u32 s1, s27, s35
	v_mov_b32_e32 v4, s1
	v_add_co_u32_e32 v3, vcc, s0, v3
	v_mov_b32_e32 v6, v1
	v_addc_co_u32_e32 v4, vcc, 0, v4, vcc
	s_lshl_b32 s20, s62, 1
	s_mov_b64 s[4:5], 0
	s_mov_b64 s[6:7], 0x7f800000
	s_movk_i32 s21, 0x80
	s_mov_b64 s[8:9], 0x43e00001
	s_movk_i32 s23, 0x7a
	;; [unrolled: 2-line block ×3, first 2 shown]
	v_mov_b32_e32 v10, 0x78
	v_mov_b32_e32 v11, 0xffffff82
	;; [unrolled: 1-line block ×3, first 2 shown]
	s_branch .LBB18_1060
.LBB18_1059:                            ;   in Loop: Header=BB18_1060 Depth=1
	s_or_b64 exec, exec, s[0:1]
	v_mov_b32_e32 v8, s70
	v_add_co_u32_e32 v7, vcc, s69, v5
	v_addc_co_u32_e32 v8, vcc, v8, v6, vcc
	v_add_co_u32_e32 v5, vcc, s62, v5
	v_addc_co_u32_e32 v6, vcc, 0, v6, vcc
	v_cmp_le_i32_e32 vcc, s22, v5
	s_or_b64 s[4:5], vcc, s[4:5]
	v_add_co_u32_e32 v3, vcc, s20, v3
	v_addc_co_u32_e32 v4, vcc, 0, v4, vcc
	global_store_byte v[7:8], v1, off
	s_andn2_b64 exec, exec, s[4:5]
	s_cbranch_execz .LBB18_1080
.LBB18_1060:                            ; =>This Inner Loop Header: Depth=1
	global_load_ushort v1, v[3:4], off
	s_waitcnt vmcnt(0)
	v_cvt_f32_f16_e32 v1, v1
	v_div_scale_f32 v7, s[0:1], s33, s33, v1
	v_div_scale_f32 v8, vcc, v1, s33, v1
	v_rcp_f32_e32 v9, v7
	v_fma_f32 v12, -v7, v9, 1.0
	v_fmac_f32_e32 v9, v12, v9
	v_mul_f32_e32 v12, v8, v9
	v_fma_f32 v13, -v7, v12, v8
	v_fmac_f32_e32 v12, v13, v9
	v_fma_f32 v7, -v7, v12, v8
	v_div_fmas_f32 v7, v7, v9, v12
	v_div_fixup_f32 v1, v7, s33, v1
	v_cvt_f16_f32_e32 v1, v1
	v_cvt_f32_f16_e32 v7, v1
	v_and_b32_e32 v1, 0x7f800000, v7
	v_cmp_ne_u64_e32 vcc, s[6:7], v[1:2]
                                        ; implicit-def: $vgpr1
	s_and_saveexec_b64 s[0:1], vcc
	s_xor_b64 s[12:13], exec, s[0:1]
	s_cbranch_execz .LBB18_1078
; %bb.1061:                             ;   in Loop: Header=BB18_1060 Depth=1
	v_and_b32_e32 v1, 0x7fffffff, v7
	v_cmp_gt_u64_e32 vcc, s[8:9], v[1:2]
	v_and_b32_sdwa v12, v7, s21 dst_sel:DWORD dst_unused:UNUSED_PAD src0_sel:BYTE_3 src1_sel:DWORD
                                        ; implicit-def: $vgpr1
	s_and_saveexec_b64 s[0:1], vcc
	s_xor_b64 s[14:15], exec, s[0:1]
	s_cbranch_execz .LBB18_1075
; %bb.1062:                             ;   in Loop: Header=BB18_1060 Depth=1
	v_cmp_ne_u32_e32 vcc, 0, v7
	v_mov_b32_e32 v1, 0
	s_and_saveexec_b64 s[16:17], vcc
	s_cbranch_execz .LBB18_1074
; %bb.1063:                             ;   in Loop: Header=BB18_1060 Depth=1
	v_bfe_u32 v13, v7, 23, 8
	v_and_b32_e32 v1, 0x7fffff, v7
	v_sub_u32_e32 v7, 0x79, v13
	v_cmp_gt_u32_e32 vcc, s23, v13
	v_cndmask_b32_e32 v7, 0, v7, vcc
	v_cmp_eq_u32_e32 vcc, 0, v13
	v_cndmask_b32_e32 v14, v7, v10, vcc
	v_add_u32_e32 v7, 20, v14
	v_or_b32_e32 v9, 0x800000, v1
	v_lshlrev_b64 v[7:8], v7, -1
	v_cndmask_b32_e32 v1, v9, v1, vcc
	v_bfi_b32 v15, v7, 0, v1
	v_add_u32_e32 v7, 19, v14
	v_bfi_b32 v16, v8, 0, 0
	v_lshlrev_b64 v[17:18], v7, 1
	v_lshrrev_b64 v[7:8], v14, v[1:2]
	v_cmp_eq_u64_e64 s[0:1], v[15:16], v[17:18]
	v_mov_b32_e32 v9, v8
	v_mov_b32_e32 v8, v7
	s_and_saveexec_b64 s[18:19], s[0:1]
; %bb.1064:                             ;   in Loop: Header=BB18_1060 Depth=1
	v_bfe_u32 v1, v7, 20, 1
	v_add_co_u32_e64 v1, s[0:1], v7, v1
	v_add_co_u32_e64 v8, s[0:1], -1, v1
; %bb.1065:                             ;   in Loop: Header=BB18_1060 Depth=1
	s_or_b64 exec, exec, s[18:19]
	v_add_u32_e32 v1, 0xffffff81, v13
	v_cndmask_b32_e32 v1, v1, v11, vcc
	v_lshrrev_b32_e32 v9, 23, v7
	v_add3_u32 v14, v14, v1, v9
	v_add_u32_e32 v13, 6, v14
	v_and_b32_e32 v1, 0xfffff, v8
	v_add_u32_e32 v1, v1, v7
	v_cmp_ne_u32_e32 vcc, 0, v13
                                        ; implicit-def: $vgpr7_vgpr8
                                        ; implicit-def: $vgpr9
	s_and_saveexec_b64 s[0:1], vcc
	s_xor_b64 s[0:1], exec, s[0:1]
; %bb.1066:                             ;   in Loop: Header=BB18_1060 Depth=1
	v_cmp_lt_u64_e32 vcc, s[10:11], v[1:2]
	v_add_u32_e32 v7, 7, v14
	v_cndmask_b32_e32 v9, v13, v7, vcc
	v_cndmask_b32_e64 v7, 0, 1, vcc
	v_lshrrev_b64 v[7:8], v7, v[1:2]
; %bb.1067:                             ;   in Loop: Header=BB18_1060 Depth=1
	s_andn2_saveexec_b64 s[0:1], s[0:1]
; %bb.1068:                             ;   in Loop: Header=BB18_1060 Depth=1
	v_mov_b32_e32 v8, v2
	v_bfe_u32 v9, v1, 23, 1
	v_mov_b32_e32 v7, v1
; %bb.1069:                             ;   in Loop: Header=BB18_1060 Depth=1
	s_or_b64 exec, exec, s[0:1]
	v_lshrrev_b64 v[7:8], 20, v[7:8]
	v_cmp_gt_i32_e32 vcc, 16, v9
	v_cndmask_b32_e32 v8, 0, v8, vcc
	v_cndmask_b32_e32 v7, 7, v7, vcc
	v_cmp_ne_u64_e32 vcc, 0, v[7:8]
	v_cmp_ne_u32_e64 s[0:1], 0, v9
	s_or_b64 s[0:1], s[0:1], vcc
                                        ; implicit-def: $vgpr1
	s_and_saveexec_b64 s[18:19], s[0:1]
	s_xor_b64 s[0:1], exec, s[18:19]
; %bb.1070:                             ;   in Loop: Header=BB18_1060 Depth=1
	v_min_i32_e32 v1, 15, v9
	v_lshl_or_b32 v1, v1, 3, v12
	v_and_or_b32 v1, v7, 7, v1
                                        ; implicit-def: $vgpr12
; %bb.1071:                             ;   in Loop: Header=BB18_1060 Depth=1
	s_andn2_saveexec_b64 s[0:1], s[0:1]
; %bb.1072:                             ;   in Loop: Header=BB18_1060 Depth=1
	v_mov_b32_e32 v1, v12
; %bb.1073:                             ;   in Loop: Header=BB18_1060 Depth=1
	s_or_b64 exec, exec, s[0:1]
.LBB18_1074:                            ;   in Loop: Header=BB18_1060 Depth=1
	s_or_b64 exec, exec, s[16:17]
                                        ; implicit-def: $vgpr12
.LBB18_1075:                            ;   in Loop: Header=BB18_1060 Depth=1
	s_andn2_saveexec_b64 s[0:1], s[14:15]
; %bb.1076:                             ;   in Loop: Header=BB18_1060 Depth=1
	v_or_b32_e32 v1, 0x7e, v12
; %bb.1077:                             ;   in Loop: Header=BB18_1060 Depth=1
	s_or_b64 exec, exec, s[0:1]
                                        ; implicit-def: $vgpr7
.LBB18_1078:                            ;   in Loop: Header=BB18_1060 Depth=1
	s_andn2_saveexec_b64 s[0:1], s[12:13]
	s_cbranch_execz .LBB18_1059
; %bb.1079:                             ;   in Loop: Header=BB18_1060 Depth=1
	v_or_b32_sdwa v1, v7, s24 dst_sel:DWORD dst_unused:UNUSED_PAD src0_sel:BYTE_3 src1_sel:DWORD
	s_branch .LBB18_1059
.LBB18_1080:
	s_or_b64 exec, exec, s[2:3]
	s_sub_i32 s40, s48, s22
	s_ashr_i32 s0, s40, 31
	s_lshr_b32 s0, s0, 29
	s_add_i32 s0, s40, s0
	s_ashr_i32 s20, s0, 3
	s_ashr_i32 s23, s22, 31
	v_cmp_gt_i32_e32 vcc, s20, v0
	s_and_saveexec_b64 s[2:3], vcc
	s_cbranch_execz .LBB18_1227
; %bb.1081:
	s_add_u32 s0, s22, s64
	s_addc_u32 s1, s23, s63
	s_add_u32 s0, s0, s66
	s_addc_u32 s1, s1, s65
	s_add_u32 s0, s30, s0
	v_lshlrev_b32_e32 v1, 3, v0
	s_addc_u32 s1, s31, s1
	v_mov_b32_e32 v2, s1
	v_add_co_u32_e32 v7, vcc, s0, v1
	s_lshl_b32 s21, s62, 3
	s_lshl_b64 s[0:1], s[22:23], 1
	s_add_u32 s0, s26, s0
	s_addc_u32 s1, s27, s1
	s_add_u32 s0, s0, s34
	v_addc_co_u32_e32 v8, vcc, 0, v2, vcc
	v_lshlrev_b32_e32 v1, 4, v0
	s_addc_u32 s1, s1, s35
	v_mov_b32_e32 v2, s1
	v_add_co_u32_e32 v9, vcc, s0, v1
	v_mov_b32_e32 v6, 0
	v_addc_co_u32_e32 v10, vcc, 0, v2, vcc
	s_lshl_b32 s24, s62, 4
	s_mov_b64 s[4:5], 0
	s_mov_b64 s[6:7], 0x7f800000
	s_movk_i32 s25, 0x80
	s_mov_b64 s[8:9], 0x43e00001
	s_movk_i32 s28, 0x7a
	;; [unrolled: 2-line block ×3, first 2 shown]
	s_mov_b32 s36, 0xff00
	s_mov_b32 s37, 0x4020c0c
	v_mov_b32_e32 v19, 0x78
	v_mov_b32_e32 v20, 0xffffff82
	;; [unrolled: 1-line block ×3, first 2 shown]
	s_branch .LBB18_1083
.LBB18_1082:                            ;   in Loop: Header=BB18_1083 Depth=1
	s_or_b64 exec, exec, s[0:1]
	v_lshlrev_b32_e32 v3, 24, v4
	v_lshlrev_b32_e32 v4, 16, v15
	v_and_b32_e32 v4, 0xff0000, v4
	v_lshlrev_b32_e32 v2, 8, v2
	v_or_b32_e32 v3, v3, v4
	v_and_b32_e32 v2, 0xff00, v2
	v_and_b32_e32 v4, 0xff, v14
	v_or3_b32 v2, v3, v2, v4
	v_lshlrev_b32_e32 v3, 16, v13
	v_lshlrev_b32_e32 v4, 8, v12
	v_perm_b32 v1, v1, v3, s37
	v_and_or_b32 v1, v4, s36, v1
	v_or_b32_sdwa v1, v1, v11 dst_sel:DWORD dst_unused:UNUSED_PAD src0_sel:DWORD src1_sel:BYTE_0
	global_store_dwordx2 v[7:8], v[1:2], off
	v_add_co_u32_e32 v7, vcc, s21, v7
	v_add_u32_e32 v21, s62, v21
	v_addc_co_u32_e32 v8, vcc, 0, v8, vcc
	v_cmp_le_i32_e32 vcc, s20, v21
	s_or_b64 s[4:5], vcc, s[4:5]
	v_add_co_u32_e32 v9, vcc, s24, v9
	v_addc_co_u32_e32 v10, vcc, 0, v10, vcc
	s_andn2_b64 exec, exec, s[4:5]
	s_cbranch_execz .LBB18_1227
.LBB18_1083:                            ; =>This Inner Loop Header: Depth=1
	global_load_dwordx4 v[1:4], v[9:10], off
	s_waitcnt vmcnt(0)
	v_cvt_f32_f16_e32 v5, v1
	v_div_scale_f32 v11, s[0:1], s33, s33, v5
	v_div_scale_f32 v12, vcc, v5, s33, v5
	v_rcp_f32_e32 v13, v11
	v_fma_f32 v14, -v11, v13, 1.0
	v_fmac_f32_e32 v13, v14, v13
	v_mul_f32_e32 v14, v12, v13
	v_fma_f32 v15, -v11, v14, v12
	v_fmac_f32_e32 v14, v15, v13
	v_fma_f32 v11, -v11, v14, v12
	v_div_fmas_f32 v11, v11, v13, v14
	v_div_fixup_f32 v5, v11, s33, v5
	v_cvt_f16_f32_e32 v5, v5
                                        ; implicit-def: $vgpr11_vgpr12
	v_cvt_f32_f16_e32 v14, v5
	v_and_b32_e32 v5, 0x7f800000, v14
	v_cmp_ne_u64_e32 vcc, s[6:7], v[5:6]
	s_and_saveexec_b64 s[0:1], vcc
	s_xor_b64 s[12:13], exec, s[0:1]
	s_cbranch_execz .LBB18_1099
; %bb.1084:                             ;   in Loop: Header=BB18_1083 Depth=1
	v_and_b32_e32 v5, 0x7fffffff, v14
	v_cmp_gt_u64_e32 vcc, s[8:9], v[5:6]
	v_and_b32_sdwa v13, v14, s25 dst_sel:DWORD dst_unused:UNUSED_PAD src0_sel:BYTE_3 src1_sel:DWORD
                                        ; implicit-def: $vgpr11_vgpr12
	s_and_saveexec_b64 s[0:1], vcc
	s_xor_b64 s[14:15], exec, s[0:1]
	s_cbranch_execz .LBB18_1096
; %bb.1085:                             ;   in Loop: Header=BB18_1083 Depth=1
	v_mov_b32_e32 v11, 0
	v_cmp_ne_u32_e32 vcc, 0, v14
	v_mov_b32_e32 v12, 0
	s_and_saveexec_b64 s[16:17], vcc
	s_cbranch_execz .LBB18_1095
; %bb.1086:                             ;   in Loop: Header=BB18_1083 Depth=1
	v_bfe_u32 v16, v14, 23, 8
	v_sub_u32_e32 v11, 0x79, v16
	v_cmp_gt_u32_e32 vcc, s28, v16
	v_cndmask_b32_e32 v11, 0, v11, vcc
	v_cmp_eq_u32_e32 vcc, 0, v16
	v_cndmask_b32_e32 v17, v11, v19, vcc
	v_and_b32_e32 v5, 0x7fffff, v14
	v_add_u32_e32 v11, 20, v17
	v_or_b32_e32 v14, 0x800000, v5
	v_lshlrev_b64 v[11:12], v11, -1
	v_cndmask_b32_e32 v5, v14, v5, vcc
	v_bfi_b32 v14, v11, 0, v5
	v_add_u32_e32 v11, 19, v17
	v_bfi_b32 v15, v12, 0, 0
	v_lshlrev_b64 v[22:23], v11, 1
	v_lshrrev_b64 v[11:12], v17, v[5:6]
	v_cmp_eq_u64_e64 s[0:1], v[14:15], v[22:23]
	v_mov_b32_e32 v15, v12
	v_mov_b32_e32 v14, v11
	s_and_saveexec_b64 s[18:19], s[0:1]
; %bb.1087:                             ;   in Loop: Header=BB18_1083 Depth=1
	v_bfe_u32 v5, v11, 20, 1
	v_add_co_u32_e64 v5, s[0:1], v11, v5
	v_add_co_u32_e64 v14, s[0:1], -1, v5
; %bb.1088:                             ;   in Loop: Header=BB18_1083 Depth=1
	s_or_b64 exec, exec, s[18:19]
	v_add_u32_e32 v5, 0xffffff81, v16
	v_cndmask_b32_e32 v5, v5, v20, vcc
	v_lshrrev_b32_e32 v12, 23, v11
	v_add3_u32 v17, v17, v5, v12
	v_add_u32_e32 v15, 6, v17
	v_and_b32_e32 v5, 0xfffff, v14
	v_add_u32_e32 v5, v5, v11
	v_cmp_ne_u32_e32 vcc, 0, v15
                                        ; implicit-def: $vgpr11_vgpr12
                                        ; implicit-def: $vgpr16
	s_and_saveexec_b64 s[0:1], vcc
	s_xor_b64 s[0:1], exec, s[0:1]
; %bb.1089:                             ;   in Loop: Header=BB18_1083 Depth=1
	v_cmp_lt_u64_e32 vcc, s[10:11], v[5:6]
	v_add_u32_e32 v11, 7, v17
	v_cndmask_b32_e32 v16, v15, v11, vcc
	v_cndmask_b32_e64 v11, 0, 1, vcc
	v_lshrrev_b64 v[11:12], v11, v[5:6]
; %bb.1090:                             ;   in Loop: Header=BB18_1083 Depth=1
	s_andn2_saveexec_b64 s[0:1], s[0:1]
; %bb.1091:                             ;   in Loop: Header=BB18_1083 Depth=1
	v_mov_b32_e32 v12, v6
	v_bfe_u32 v16, v5, 23, 1
	v_mov_b32_e32 v11, v5
; %bb.1092:                             ;   in Loop: Header=BB18_1083 Depth=1
	s_or_b64 exec, exec, s[0:1]
	v_lshrrev_b64 v[11:12], 20, v[11:12]
	v_cmp_gt_i32_e32 vcc, 16, v16
	v_cndmask_b32_e32 v15, 0, v12, vcc
	v_cndmask_b32_e32 v14, 7, v11, vcc
	v_cmp_ne_u64_e32 vcc, 0, v[14:15]
	v_cmp_ne_u32_e64 s[0:1], 0, v16
	s_or_b64 s[0:1], s[0:1], vcc
	v_mov_b32_e32 v11, v13
	v_mov_b32_e32 v12, v14
	s_and_saveexec_b64 s[18:19], s[0:1]
	s_xor_b64 s[0:1], exec, s[18:19]
; %bb.1093:                             ;   in Loop: Header=BB18_1083 Depth=1
	v_min_i32_e32 v5, 15, v16
	v_lshl_or_b32 v5, v5, 3, v13
	v_and_or_b32 v11, v14, 7, v5
; %bb.1094:                             ;   in Loop: Header=BB18_1083 Depth=1
	s_andn2_saveexec_b64 s[0:1], s[0:1]
	s_or_b64 exec, exec, s[0:1]
.LBB18_1095:                            ;   in Loop: Header=BB18_1083 Depth=1
	s_or_b64 exec, exec, s[16:17]
                                        ; implicit-def: $vgpr13
.LBB18_1096:                            ;   in Loop: Header=BB18_1083 Depth=1
	s_andn2_saveexec_b64 s[0:1], s[14:15]
; %bb.1097:                             ;   in Loop: Header=BB18_1083 Depth=1
	v_or_b32_e32 v11, 0x7e, v13
; %bb.1098:                             ;   in Loop: Header=BB18_1083 Depth=1
	s_or_b64 exec, exec, s[0:1]
                                        ; implicit-def: $vgpr14
.LBB18_1099:                            ;   in Loop: Header=BB18_1083 Depth=1
	s_andn2_saveexec_b64 s[0:1], s[12:13]
; %bb.1100:                             ;   in Loop: Header=BB18_1083 Depth=1
	v_or_b32_sdwa v11, v14, s29 dst_sel:DWORD dst_unused:UNUSED_PAD src0_sel:BYTE_3 src1_sel:DWORD
; %bb.1101:                             ;   in Loop: Header=BB18_1083 Depth=1
	s_or_b64 exec, exec, s[0:1]
	v_cvt_f32_f16_sdwa v1, v1 dst_sel:DWORD dst_unused:UNUSED_PAD src0_sel:WORD_1
	v_div_scale_f32 v5, s[0:1], s33, s33, v1
	v_div_scale_f32 v12, vcc, v1, s33, v1
	v_rcp_f32_e32 v13, v5
	v_fma_f32 v14, -v5, v13, 1.0
	v_fmac_f32_e32 v13, v14, v13
	v_mul_f32_e32 v14, v12, v13
	v_fma_f32 v15, -v5, v14, v12
	v_fmac_f32_e32 v14, v15, v13
	v_fma_f32 v5, -v5, v14, v12
	v_div_fmas_f32 v5, v5, v13, v14
                                        ; implicit-def: $vgpr12_vgpr13
	v_div_fixup_f32 v1, v5, s33, v1
	v_cvt_f16_f32_e32 v1, v1
	v_cvt_f32_f16_e32 v14, v1
	v_and_b32_e32 v5, 0x7f800000, v14
	v_cmp_ne_u64_e32 vcc, s[6:7], v[5:6]
	s_and_saveexec_b64 s[0:1], vcc
	s_xor_b64 s[12:13], exec, s[0:1]
	s_cbranch_execz .LBB18_1117
; %bb.1102:                             ;   in Loop: Header=BB18_1083 Depth=1
	v_and_b32_e32 v5, 0x7fffffff, v14
	v_cmp_gt_u64_e32 vcc, s[8:9], v[5:6]
	v_and_b32_sdwa v1, v14, s25 dst_sel:DWORD dst_unused:UNUSED_PAD src0_sel:BYTE_3 src1_sel:DWORD
                                        ; implicit-def: $vgpr12_vgpr13
	s_and_saveexec_b64 s[0:1], vcc
	s_xor_b64 s[14:15], exec, s[0:1]
	s_cbranch_execz .LBB18_1114
; %bb.1103:                             ;   in Loop: Header=BB18_1083 Depth=1
	v_mov_b32_e32 v12, 0
	v_cmp_ne_u32_e32 vcc, 0, v14
	v_mov_b32_e32 v13, 0
	s_and_saveexec_b64 s[16:17], vcc
	s_cbranch_execz .LBB18_1113
; %bb.1104:                             ;   in Loop: Header=BB18_1083 Depth=1
	v_bfe_u32 v15, v14, 23, 8
	v_sub_u32_e32 v12, 0x79, v15
	v_cmp_gt_u32_e32 vcc, s28, v15
	v_cndmask_b32_e32 v12, 0, v12, vcc
	v_cmp_eq_u32_e32 vcc, 0, v15
	v_cndmask_b32_e32 v16, v12, v19, vcc
	v_and_b32_e32 v5, 0x7fffff, v14
	v_add_u32_e32 v12, 20, v16
	v_or_b32_e32 v14, 0x800000, v5
	v_lshlrev_b64 v[12:13], v12, -1
	v_cndmask_b32_e32 v5, v14, v5, vcc
	v_bfi_b32 v17, v12, 0, v5
	v_add_u32_e32 v12, 19, v16
	v_bfi_b32 v18, v13, 0, 0
	v_lshlrev_b64 v[22:23], v12, 1
	v_lshrrev_b64 v[12:13], v16, v[5:6]
	v_cmp_eq_u64_e64 s[0:1], v[17:18], v[22:23]
	v_mov_b32_e32 v14, v13
	v_mov_b32_e32 v13, v12
	s_and_saveexec_b64 s[18:19], s[0:1]
; %bb.1105:                             ;   in Loop: Header=BB18_1083 Depth=1
	v_bfe_u32 v5, v12, 20, 1
	v_add_co_u32_e64 v5, s[0:1], v12, v5
	v_add_co_u32_e64 v13, s[0:1], -1, v5
; %bb.1106:                             ;   in Loop: Header=BB18_1083 Depth=1
	s_or_b64 exec, exec, s[18:19]
	v_add_u32_e32 v5, 0xffffff81, v15
	v_cndmask_b32_e32 v5, v5, v20, vcc
	v_lshrrev_b32_e32 v14, 23, v12
	v_add3_u32 v15, v16, v5, v14
	v_add_u32_e32 v14, 6, v15
	v_and_b32_e32 v5, 0xfffff, v13
	v_add_u32_e32 v5, v5, v12
	v_cmp_ne_u32_e32 vcc, 0, v14
                                        ; implicit-def: $vgpr12_vgpr13
                                        ; implicit-def: $vgpr16
	s_and_saveexec_b64 s[0:1], vcc
	s_xor_b64 s[0:1], exec, s[0:1]
; %bb.1107:                             ;   in Loop: Header=BB18_1083 Depth=1
	v_cmp_lt_u64_e32 vcc, s[10:11], v[5:6]
	v_add_u32_e32 v12, 7, v15
	v_cndmask_b32_e32 v16, v14, v12, vcc
	v_cndmask_b32_e64 v12, 0, 1, vcc
	v_lshrrev_b64 v[12:13], v12, v[5:6]
; %bb.1108:                             ;   in Loop: Header=BB18_1083 Depth=1
	s_andn2_saveexec_b64 s[0:1], s[0:1]
; %bb.1109:                             ;   in Loop: Header=BB18_1083 Depth=1
	v_mov_b32_e32 v13, v6
	v_bfe_u32 v16, v5, 23, 1
	v_mov_b32_e32 v12, v5
; %bb.1110:                             ;   in Loop: Header=BB18_1083 Depth=1
	s_or_b64 exec, exec, s[0:1]
	v_lshrrev_b64 v[12:13], 20, v[12:13]
	v_cmp_gt_i32_e32 vcc, 16, v16
	v_cndmask_b32_e32 v15, 0, v13, vcc
	v_cndmask_b32_e32 v14, 7, v12, vcc
	v_cmp_ne_u64_e32 vcc, 0, v[14:15]
	v_cmp_ne_u32_e64 s[0:1], 0, v16
	v_mov_b32_e32 v13, v2
	s_or_b64 s[0:1], s[0:1], vcc
	v_mov_b32_e32 v12, v1
	s_and_saveexec_b64 s[18:19], s[0:1]
	s_xor_b64 s[0:1], exec, s[18:19]
; %bb.1111:                             ;   in Loop: Header=BB18_1083 Depth=1
	v_min_i32_e32 v5, 15, v16
	v_lshl_or_b32 v1, v5, 3, v1
	v_and_or_b32 v12, v14, 7, v1
; %bb.1112:                             ;   in Loop: Header=BB18_1083 Depth=1
	s_andn2_saveexec_b64 s[0:1], s[0:1]
	s_or_b64 exec, exec, s[0:1]
.LBB18_1113:                            ;   in Loop: Header=BB18_1083 Depth=1
	s_or_b64 exec, exec, s[16:17]
                                        ; implicit-def: $vgpr1
.LBB18_1114:                            ;   in Loop: Header=BB18_1083 Depth=1
	s_andn2_saveexec_b64 s[0:1], s[14:15]
; %bb.1115:                             ;   in Loop: Header=BB18_1083 Depth=1
	v_or_b32_e32 v12, 0x7e, v1
; %bb.1116:                             ;   in Loop: Header=BB18_1083 Depth=1
	s_or_b64 exec, exec, s[0:1]
                                        ; implicit-def: $vgpr14
.LBB18_1117:                            ;   in Loop: Header=BB18_1083 Depth=1
	s_andn2_saveexec_b64 s[0:1], s[12:13]
; %bb.1118:                             ;   in Loop: Header=BB18_1083 Depth=1
	v_or_b32_sdwa v12, v14, s29 dst_sel:DWORD dst_unused:UNUSED_PAD src0_sel:BYTE_3 src1_sel:DWORD
; %bb.1119:                             ;   in Loop: Header=BB18_1083 Depth=1
	s_or_b64 exec, exec, s[0:1]
	v_cvt_f32_f16_e32 v1, v2
	v_div_scale_f32 v5, s[0:1], s33, s33, v1
	v_div_scale_f32 v13, vcc, v1, s33, v1
	v_rcp_f32_e32 v14, v5
	v_fma_f32 v15, -v5, v14, 1.0
	v_fmac_f32_e32 v14, v15, v14
	v_mul_f32_e32 v15, v13, v14
	v_fma_f32 v16, -v5, v15, v13
	v_fmac_f32_e32 v15, v16, v14
	v_fma_f32 v5, -v5, v15, v13
	v_div_fmas_f32 v5, v5, v14, v15
                                        ; implicit-def: $vgpr13_vgpr14
	v_div_fixup_f32 v1, v5, s33, v1
	v_cvt_f16_f32_e32 v1, v1
	v_cvt_f32_f16_e32 v15, v1
	v_and_b32_e32 v5, 0x7f800000, v15
	v_cmp_ne_u64_e32 vcc, s[6:7], v[5:6]
	s_and_saveexec_b64 s[0:1], vcc
	s_xor_b64 s[12:13], exec, s[0:1]
	s_cbranch_execz .LBB18_1135
; %bb.1120:                             ;   in Loop: Header=BB18_1083 Depth=1
	v_and_b32_e32 v5, 0x7fffffff, v15
	v_cmp_gt_u64_e32 vcc, s[8:9], v[5:6]
	v_and_b32_sdwa v1, v15, s25 dst_sel:DWORD dst_unused:UNUSED_PAD src0_sel:BYTE_3 src1_sel:DWORD
                                        ; implicit-def: $vgpr13_vgpr14
	s_and_saveexec_b64 s[0:1], vcc
	s_xor_b64 s[14:15], exec, s[0:1]
	s_cbranch_execz .LBB18_1132
; %bb.1121:                             ;   in Loop: Header=BB18_1083 Depth=1
	v_mov_b32_e32 v13, 0
	v_cmp_ne_u32_e32 vcc, 0, v15
	v_mov_b32_e32 v14, 0
	s_and_saveexec_b64 s[16:17], vcc
	s_cbranch_execz .LBB18_1131
; %bb.1122:                             ;   in Loop: Header=BB18_1083 Depth=1
	v_bfe_u32 v16, v15, 23, 8
	v_sub_u32_e32 v13, 0x79, v16
	v_cmp_gt_u32_e32 vcc, s28, v16
	v_cndmask_b32_e32 v13, 0, v13, vcc
	v_cmp_eq_u32_e32 vcc, 0, v16
	v_cndmask_b32_e32 v17, v13, v19, vcc
	v_and_b32_e32 v5, 0x7fffff, v15
	v_add_u32_e32 v13, 20, v17
	v_or_b32_e32 v15, 0x800000, v5
	v_lshlrev_b64 v[13:14], v13, -1
	v_cndmask_b32_e32 v5, v15, v5, vcc
	v_bfi_b32 v22, v13, 0, v5
	v_add_u32_e32 v13, 19, v17
	v_bfi_b32 v23, v14, 0, 0
	v_lshlrev_b64 v[24:25], v13, 1
	v_lshrrev_b64 v[13:14], v17, v[5:6]
	v_cmp_eq_u64_e64 s[0:1], v[22:23], v[24:25]
	v_mov_b32_e32 v15, v14
	v_mov_b32_e32 v14, v13
	s_and_saveexec_b64 s[18:19], s[0:1]
; %bb.1123:                             ;   in Loop: Header=BB18_1083 Depth=1
	v_bfe_u32 v5, v13, 20, 1
	v_add_co_u32_e64 v5, s[0:1], v13, v5
	v_add_co_u32_e64 v14, s[0:1], -1, v5
; %bb.1124:                             ;   in Loop: Header=BB18_1083 Depth=1
	s_or_b64 exec, exec, s[18:19]
	v_add_u32_e32 v5, 0xffffff81, v16
	v_cndmask_b32_e32 v5, v5, v20, vcc
	v_lshrrev_b32_e32 v15, 23, v13
	v_add3_u32 v16, v17, v5, v15
	v_add_u32_e32 v15, 6, v16
	v_and_b32_e32 v5, 0xfffff, v14
	v_add_u32_e32 v5, v5, v13
	v_cmp_ne_u32_e32 vcc, 0, v15
                                        ; implicit-def: $vgpr13_vgpr14
                                        ; implicit-def: $vgpr17
	s_and_saveexec_b64 s[0:1], vcc
	s_xor_b64 s[0:1], exec, s[0:1]
; %bb.1125:                             ;   in Loop: Header=BB18_1083 Depth=1
	v_cmp_lt_u64_e32 vcc, s[10:11], v[5:6]
	v_add_u32_e32 v13, 7, v16
	v_cndmask_b32_e32 v17, v15, v13, vcc
	v_cndmask_b32_e64 v13, 0, 1, vcc
	v_lshrrev_b64 v[13:14], v13, v[5:6]
; %bb.1126:                             ;   in Loop: Header=BB18_1083 Depth=1
	s_andn2_saveexec_b64 s[0:1], s[0:1]
; %bb.1127:                             ;   in Loop: Header=BB18_1083 Depth=1
	v_mov_b32_e32 v14, v6
	v_bfe_u32 v17, v5, 23, 1
	v_mov_b32_e32 v13, v5
; %bb.1128:                             ;   in Loop: Header=BB18_1083 Depth=1
	s_or_b64 exec, exec, s[0:1]
	v_lshrrev_b64 v[13:14], 20, v[13:14]
	v_cmp_gt_i32_e32 vcc, 16, v17
	v_cndmask_b32_e32 v16, 0, v14, vcc
	v_cndmask_b32_e32 v15, 7, v13, vcc
	v_cmp_ne_u64_e32 vcc, 0, v[15:16]
	v_cmp_ne_u32_e64 s[0:1], 0, v17
	v_mov_b32_e32 v14, v2
	s_or_b64 s[0:1], s[0:1], vcc
	v_mov_b32_e32 v13, v1
	s_and_saveexec_b64 s[18:19], s[0:1]
	s_xor_b64 s[0:1], exec, s[18:19]
; %bb.1129:                             ;   in Loop: Header=BB18_1083 Depth=1
	v_min_i32_e32 v5, 15, v17
	v_lshl_or_b32 v1, v5, 3, v1
	v_and_or_b32 v13, v15, 7, v1
; %bb.1130:                             ;   in Loop: Header=BB18_1083 Depth=1
	s_andn2_saveexec_b64 s[0:1], s[0:1]
	s_or_b64 exec, exec, s[0:1]
.LBB18_1131:                            ;   in Loop: Header=BB18_1083 Depth=1
	s_or_b64 exec, exec, s[16:17]
                                        ; implicit-def: $vgpr1
.LBB18_1132:                            ;   in Loop: Header=BB18_1083 Depth=1
	s_andn2_saveexec_b64 s[0:1], s[14:15]
; %bb.1133:                             ;   in Loop: Header=BB18_1083 Depth=1
	v_or_b32_e32 v13, 0x7e, v1
; %bb.1134:                             ;   in Loop: Header=BB18_1083 Depth=1
	s_or_b64 exec, exec, s[0:1]
                                        ; implicit-def: $vgpr15
.LBB18_1135:                            ;   in Loop: Header=BB18_1083 Depth=1
	s_andn2_saveexec_b64 s[0:1], s[12:13]
; %bb.1136:                             ;   in Loop: Header=BB18_1083 Depth=1
	v_or_b32_sdwa v13, v15, s29 dst_sel:DWORD dst_unused:UNUSED_PAD src0_sel:BYTE_3 src1_sel:DWORD
; %bb.1137:                             ;   in Loop: Header=BB18_1083 Depth=1
	s_or_b64 exec, exec, s[0:1]
	v_cvt_f32_f16_sdwa v1, v2 dst_sel:DWORD dst_unused:UNUSED_PAD src0_sel:WORD_1
	v_div_scale_f32 v2, s[0:1], s33, s33, v1
	v_div_scale_f32 v5, vcc, v1, s33, v1
	v_rcp_f32_e32 v14, v2
	v_fma_f32 v15, -v2, v14, 1.0
	v_fmac_f32_e32 v14, v15, v14
	v_mul_f32_e32 v15, v5, v14
	v_fma_f32 v16, -v2, v15, v5
	v_fmac_f32_e32 v15, v16, v14
	v_fma_f32 v2, -v2, v15, v5
	v_div_fmas_f32 v2, v2, v14, v15
	v_div_fixup_f32 v1, v2, s33, v1
	v_cvt_f16_f32_e32 v1, v1
	v_cvt_f32_f16_e32 v15, v1
                                        ; implicit-def: $vgpr1_vgpr2
	v_and_b32_e32 v5, 0x7f800000, v15
	v_cmp_ne_u64_e32 vcc, s[6:7], v[5:6]
	s_and_saveexec_b64 s[0:1], vcc
	s_xor_b64 s[12:13], exec, s[0:1]
	s_cbranch_execz .LBB18_1153
; %bb.1138:                             ;   in Loop: Header=BB18_1083 Depth=1
	v_and_b32_e32 v5, 0x7fffffff, v15
	v_cmp_gt_u64_e32 vcc, s[8:9], v[5:6]
	v_and_b32_sdwa v14, v15, s25 dst_sel:DWORD dst_unused:UNUSED_PAD src0_sel:BYTE_3 src1_sel:DWORD
                                        ; implicit-def: $vgpr1_vgpr2
	s_and_saveexec_b64 s[0:1], vcc
	s_xor_b64 s[14:15], exec, s[0:1]
	s_cbranch_execz .LBB18_1150
; %bb.1139:                             ;   in Loop: Header=BB18_1083 Depth=1
	v_mov_b32_e32 v1, 0
	v_cmp_ne_u32_e32 vcc, 0, v15
	v_mov_b32_e32 v2, 0
	s_and_saveexec_b64 s[16:17], vcc
	s_cbranch_execz .LBB18_1149
; %bb.1140:                             ;   in Loop: Header=BB18_1083 Depth=1
	v_bfe_u32 v17, v15, 23, 8
	v_sub_u32_e32 v1, 0x79, v17
	v_cmp_gt_u32_e32 vcc, s28, v17
	v_cndmask_b32_e32 v1, 0, v1, vcc
	v_cmp_eq_u32_e32 vcc, 0, v17
	v_cndmask_b32_e32 v18, v1, v19, vcc
	v_and_b32_e32 v5, 0x7fffff, v15
	v_add_u32_e32 v1, 20, v18
	v_or_b32_e32 v15, 0x800000, v5
	v_lshlrev_b64 v[1:2], v1, -1
	v_cndmask_b32_e32 v5, v15, v5, vcc
	v_bfi_b32 v15, v1, 0, v5
	v_add_u32_e32 v1, 19, v18
	v_bfi_b32 v16, v2, 0, 0
	v_lshlrev_b64 v[22:23], v1, 1
	v_lshrrev_b64 v[1:2], v18, v[5:6]
	v_cmp_eq_u64_e64 s[0:1], v[15:16], v[22:23]
	v_mov_b32_e32 v16, v2
	v_mov_b32_e32 v15, v1
	s_and_saveexec_b64 s[18:19], s[0:1]
; %bb.1141:                             ;   in Loop: Header=BB18_1083 Depth=1
	v_bfe_u32 v2, v1, 20, 1
	v_add_co_u32_e64 v2, s[0:1], v1, v2
	v_add_co_u32_e64 v15, s[0:1], -1, v2
; %bb.1142:                             ;   in Loop: Header=BB18_1083 Depth=1
	s_or_b64 exec, exec, s[18:19]
	v_add_u32_e32 v2, 0xffffff81, v17
	v_cndmask_b32_e32 v2, v2, v20, vcc
	v_lshrrev_b32_e32 v5, 23, v1
	v_add3_u32 v18, v18, v2, v5
	v_add_u32_e32 v16, 6, v18
	v_and_b32_e32 v2, 0xfffff, v15
	v_add_u32_e32 v5, v2, v1
	v_cmp_ne_u32_e32 vcc, 0, v16
                                        ; implicit-def: $vgpr1_vgpr2
                                        ; implicit-def: $vgpr17
	s_and_saveexec_b64 s[0:1], vcc
	s_xor_b64 s[0:1], exec, s[0:1]
; %bb.1143:                             ;   in Loop: Header=BB18_1083 Depth=1
	v_cmp_lt_u64_e32 vcc, s[10:11], v[5:6]
	v_add_u32_e32 v1, 7, v18
	v_cndmask_b32_e32 v17, v16, v1, vcc
	v_cndmask_b32_e64 v1, 0, 1, vcc
	v_lshrrev_b64 v[1:2], v1, v[5:6]
; %bb.1144:                             ;   in Loop: Header=BB18_1083 Depth=1
	s_andn2_saveexec_b64 s[0:1], s[0:1]
; %bb.1145:                             ;   in Loop: Header=BB18_1083 Depth=1
	v_mov_b32_e32 v1, v5
	v_bfe_u32 v17, v5, 23, 1
	v_mov_b32_e32 v2, v6
; %bb.1146:                             ;   in Loop: Header=BB18_1083 Depth=1
	s_or_b64 exec, exec, s[0:1]
	v_lshrrev_b64 v[1:2], 20, v[1:2]
	v_cmp_gt_i32_e32 vcc, 16, v17
	v_cndmask_b32_e32 v16, 0, v2, vcc
	v_cndmask_b32_e32 v15, 7, v1, vcc
	v_cmp_ne_u64_e32 vcc, 0, v[15:16]
	v_cmp_ne_u32_e64 s[0:1], 0, v17
	s_or_b64 s[0:1], s[0:1], vcc
	v_mov_b32_e32 v1, v14
	v_mov_b32_e32 v2, v15
	s_and_saveexec_b64 s[18:19], s[0:1]
	s_xor_b64 s[0:1], exec, s[18:19]
; %bb.1147:                             ;   in Loop: Header=BB18_1083 Depth=1
	v_min_i32_e32 v1, 15, v17
	v_lshl_or_b32 v1, v1, 3, v14
	v_and_or_b32 v1, v15, 7, v1
; %bb.1148:                             ;   in Loop: Header=BB18_1083 Depth=1
	s_andn2_saveexec_b64 s[0:1], s[0:1]
	s_or_b64 exec, exec, s[0:1]
.LBB18_1149:                            ;   in Loop: Header=BB18_1083 Depth=1
	s_or_b64 exec, exec, s[16:17]
                                        ; implicit-def: $vgpr14
.LBB18_1150:                            ;   in Loop: Header=BB18_1083 Depth=1
	s_andn2_saveexec_b64 s[0:1], s[14:15]
; %bb.1151:                             ;   in Loop: Header=BB18_1083 Depth=1
	v_or_b32_e32 v1, 0x7e, v14
; %bb.1152:                             ;   in Loop: Header=BB18_1083 Depth=1
	s_or_b64 exec, exec, s[0:1]
                                        ; implicit-def: $vgpr15
.LBB18_1153:                            ;   in Loop: Header=BB18_1083 Depth=1
	s_andn2_saveexec_b64 s[0:1], s[12:13]
; %bb.1154:                             ;   in Loop: Header=BB18_1083 Depth=1
	v_or_b32_sdwa v1, v15, s29 dst_sel:DWORD dst_unused:UNUSED_PAD src0_sel:BYTE_3 src1_sel:DWORD
; %bb.1155:                             ;   in Loop: Header=BB18_1083 Depth=1
	s_or_b64 exec, exec, s[0:1]
	v_cvt_f32_f16_e32 v2, v3
	v_div_scale_f32 v5, s[0:1], s33, s33, v2
	v_div_scale_f32 v14, vcc, v2, s33, v2
	v_rcp_f32_e32 v15, v5
	v_fma_f32 v16, -v5, v15, 1.0
	v_fmac_f32_e32 v15, v16, v15
	v_mul_f32_e32 v16, v14, v15
	v_fma_f32 v17, -v5, v16, v14
	v_fmac_f32_e32 v16, v17, v15
	v_fma_f32 v5, -v5, v16, v14
	v_div_fmas_f32 v5, v5, v15, v16
                                        ; implicit-def: $vgpr14_vgpr15
	v_div_fixup_f32 v2, v5, s33, v2
	v_cvt_f16_f32_e32 v2, v2
	v_cvt_f32_f16_e32 v16, v2
	v_and_b32_e32 v5, 0x7f800000, v16
	v_cmp_ne_u64_e32 vcc, s[6:7], v[5:6]
	s_and_saveexec_b64 s[0:1], vcc
	s_xor_b64 s[12:13], exec, s[0:1]
	s_cbranch_execz .LBB18_1171
; %bb.1156:                             ;   in Loop: Header=BB18_1083 Depth=1
	v_and_b32_e32 v5, 0x7fffffff, v16
	v_cmp_gt_u64_e32 vcc, s[8:9], v[5:6]
	v_and_b32_sdwa v2, v16, s25 dst_sel:DWORD dst_unused:UNUSED_PAD src0_sel:BYTE_3 src1_sel:DWORD
                                        ; implicit-def: $vgpr14_vgpr15
	s_and_saveexec_b64 s[0:1], vcc
	s_xor_b64 s[14:15], exec, s[0:1]
	s_cbranch_execz .LBB18_1168
; %bb.1157:                             ;   in Loop: Header=BB18_1083 Depth=1
	v_mov_b32_e32 v14, 0
	v_cmp_ne_u32_e32 vcc, 0, v16
	v_mov_b32_e32 v15, 0
	s_and_saveexec_b64 s[16:17], vcc
	s_cbranch_execz .LBB18_1167
; %bb.1158:                             ;   in Loop: Header=BB18_1083 Depth=1
	v_bfe_u32 v17, v16, 23, 8
	v_sub_u32_e32 v14, 0x79, v17
	v_cmp_gt_u32_e32 vcc, s28, v17
	v_cndmask_b32_e32 v14, 0, v14, vcc
	v_cmp_eq_u32_e32 vcc, 0, v17
	v_cndmask_b32_e32 v18, v14, v19, vcc
	v_and_b32_e32 v5, 0x7fffff, v16
	v_add_u32_e32 v14, 20, v18
	v_or_b32_e32 v16, 0x800000, v5
	v_lshlrev_b64 v[14:15], v14, -1
	v_cndmask_b32_e32 v5, v16, v5, vcc
	v_bfi_b32 v22, v14, 0, v5
	v_add_u32_e32 v14, 19, v18
	v_bfi_b32 v23, v15, 0, 0
	v_lshlrev_b64 v[24:25], v14, 1
	v_lshrrev_b64 v[14:15], v18, v[5:6]
	v_cmp_eq_u64_e64 s[0:1], v[22:23], v[24:25]
	v_mov_b32_e32 v16, v15
	v_mov_b32_e32 v15, v14
	s_and_saveexec_b64 s[18:19], s[0:1]
; %bb.1159:                             ;   in Loop: Header=BB18_1083 Depth=1
	v_bfe_u32 v5, v14, 20, 1
	v_add_co_u32_e64 v5, s[0:1], v14, v5
	v_add_co_u32_e64 v15, s[0:1], -1, v5
; %bb.1160:                             ;   in Loop: Header=BB18_1083 Depth=1
	s_or_b64 exec, exec, s[18:19]
	v_add_u32_e32 v5, 0xffffff81, v17
	v_cndmask_b32_e32 v5, v5, v20, vcc
	v_lshrrev_b32_e32 v16, 23, v14
	v_add3_u32 v17, v18, v5, v16
	v_add_u32_e32 v16, 6, v17
	v_and_b32_e32 v5, 0xfffff, v15
	v_add_u32_e32 v5, v5, v14
	v_cmp_ne_u32_e32 vcc, 0, v16
                                        ; implicit-def: $vgpr14_vgpr15
                                        ; implicit-def: $vgpr18
	s_and_saveexec_b64 s[0:1], vcc
	s_xor_b64 s[0:1], exec, s[0:1]
; %bb.1161:                             ;   in Loop: Header=BB18_1083 Depth=1
	v_cmp_lt_u64_e32 vcc, s[10:11], v[5:6]
	v_add_u32_e32 v14, 7, v17
	v_cndmask_b32_e32 v18, v16, v14, vcc
	v_cndmask_b32_e64 v14, 0, 1, vcc
	v_lshrrev_b64 v[14:15], v14, v[5:6]
; %bb.1162:                             ;   in Loop: Header=BB18_1083 Depth=1
	s_andn2_saveexec_b64 s[0:1], s[0:1]
; %bb.1163:                             ;   in Loop: Header=BB18_1083 Depth=1
	v_mov_b32_e32 v15, v6
	v_bfe_u32 v18, v5, 23, 1
	v_mov_b32_e32 v14, v5
; %bb.1164:                             ;   in Loop: Header=BB18_1083 Depth=1
	s_or_b64 exec, exec, s[0:1]
	v_lshrrev_b64 v[14:15], 20, v[14:15]
	v_cmp_gt_i32_e32 vcc, 16, v18
	v_cndmask_b32_e32 v17, 0, v15, vcc
	v_cndmask_b32_e32 v16, 7, v14, vcc
	v_cmp_ne_u64_e32 vcc, 0, v[16:17]
	v_cmp_ne_u32_e64 s[0:1], 0, v18
	v_mov_b32_e32 v15, v3
	s_or_b64 s[0:1], s[0:1], vcc
	v_mov_b32_e32 v14, v2
	s_and_saveexec_b64 s[18:19], s[0:1]
	s_xor_b64 s[0:1], exec, s[18:19]
; %bb.1165:                             ;   in Loop: Header=BB18_1083 Depth=1
	v_min_i32_e32 v5, 15, v18
	v_lshl_or_b32 v2, v5, 3, v2
	v_and_or_b32 v14, v16, 7, v2
; %bb.1166:                             ;   in Loop: Header=BB18_1083 Depth=1
	s_andn2_saveexec_b64 s[0:1], s[0:1]
	s_or_b64 exec, exec, s[0:1]
.LBB18_1167:                            ;   in Loop: Header=BB18_1083 Depth=1
	s_or_b64 exec, exec, s[16:17]
                                        ; implicit-def: $vgpr2
.LBB18_1168:                            ;   in Loop: Header=BB18_1083 Depth=1
	s_andn2_saveexec_b64 s[0:1], s[14:15]
; %bb.1169:                             ;   in Loop: Header=BB18_1083 Depth=1
	v_or_b32_e32 v14, 0x7e, v2
; %bb.1170:                             ;   in Loop: Header=BB18_1083 Depth=1
	s_or_b64 exec, exec, s[0:1]
                                        ; implicit-def: $vgpr16
.LBB18_1171:                            ;   in Loop: Header=BB18_1083 Depth=1
	s_andn2_saveexec_b64 s[0:1], s[12:13]
; %bb.1172:                             ;   in Loop: Header=BB18_1083 Depth=1
	v_or_b32_sdwa v14, v16, s29 dst_sel:DWORD dst_unused:UNUSED_PAD src0_sel:BYTE_3 src1_sel:DWORD
; %bb.1173:                             ;   in Loop: Header=BB18_1083 Depth=1
	s_or_b64 exec, exec, s[0:1]
	v_cvt_f32_f16_sdwa v2, v3 dst_sel:DWORD dst_unused:UNUSED_PAD src0_sel:WORD_1
	v_div_scale_f32 v3, s[0:1], s33, s33, v2
	v_div_scale_f32 v5, vcc, v2, s33, v2
	v_rcp_f32_e32 v15, v3
	v_fma_f32 v16, -v3, v15, 1.0
	v_fmac_f32_e32 v15, v16, v15
	v_mul_f32_e32 v16, v5, v15
	v_fma_f32 v17, -v3, v16, v5
	v_fmac_f32_e32 v16, v17, v15
	v_fma_f32 v3, -v3, v16, v5
	v_div_fmas_f32 v3, v3, v15, v16
	v_div_fixup_f32 v2, v3, s33, v2
	v_cvt_f16_f32_e32 v2, v2
	v_cvt_f32_f16_e32 v16, v2
                                        ; implicit-def: $vgpr2_vgpr3
	v_and_b32_e32 v5, 0x7f800000, v16
	v_cmp_ne_u64_e32 vcc, s[6:7], v[5:6]
	s_and_saveexec_b64 s[0:1], vcc
	s_xor_b64 s[12:13], exec, s[0:1]
	s_cbranch_execz .LBB18_1189
; %bb.1174:                             ;   in Loop: Header=BB18_1083 Depth=1
	v_and_b32_e32 v5, 0x7fffffff, v16
	v_cmp_gt_u64_e32 vcc, s[8:9], v[5:6]
	v_and_b32_sdwa v15, v16, s25 dst_sel:DWORD dst_unused:UNUSED_PAD src0_sel:BYTE_3 src1_sel:DWORD
                                        ; implicit-def: $vgpr2_vgpr3
	s_and_saveexec_b64 s[0:1], vcc
	s_xor_b64 s[14:15], exec, s[0:1]
	s_cbranch_execz .LBB18_1186
; %bb.1175:                             ;   in Loop: Header=BB18_1083 Depth=1
	v_mov_b32_e32 v2, 0
	v_cmp_ne_u32_e32 vcc, 0, v16
	v_mov_b32_e32 v3, 0
	s_and_saveexec_b64 s[16:17], vcc
	s_cbranch_execz .LBB18_1185
; %bb.1176:                             ;   in Loop: Header=BB18_1083 Depth=1
	v_bfe_u32 v18, v16, 23, 8
	v_sub_u32_e32 v2, 0x79, v18
	v_cmp_gt_u32_e32 vcc, s28, v18
	v_cndmask_b32_e32 v2, 0, v2, vcc
	v_cmp_eq_u32_e32 vcc, 0, v18
	v_cndmask_b32_e32 v22, v2, v19, vcc
	v_and_b32_e32 v5, 0x7fffff, v16
	v_add_u32_e32 v2, 20, v22
	v_or_b32_e32 v16, 0x800000, v5
	v_lshlrev_b64 v[2:3], v2, -1
	v_cndmask_b32_e32 v5, v16, v5, vcc
	v_bfi_b32 v16, v2, 0, v5
	v_add_u32_e32 v2, 19, v22
	v_bfi_b32 v17, v3, 0, 0
	v_lshlrev_b64 v[23:24], v2, 1
	v_lshrrev_b64 v[2:3], v22, v[5:6]
	v_cmp_eq_u64_e64 s[0:1], v[16:17], v[23:24]
	v_mov_b32_e32 v17, v3
	v_mov_b32_e32 v16, v2
	s_and_saveexec_b64 s[18:19], s[0:1]
; %bb.1177:                             ;   in Loop: Header=BB18_1083 Depth=1
	v_bfe_u32 v3, v2, 20, 1
	v_add_co_u32_e64 v3, s[0:1], v2, v3
	v_add_co_u32_e64 v16, s[0:1], -1, v3
; %bb.1178:                             ;   in Loop: Header=BB18_1083 Depth=1
	s_or_b64 exec, exec, s[18:19]
	v_add_u32_e32 v3, 0xffffff81, v18
	v_cndmask_b32_e32 v3, v3, v20, vcc
	v_lshrrev_b32_e32 v5, 23, v2
	v_add3_u32 v22, v22, v3, v5
	v_add_u32_e32 v17, 6, v22
	v_and_b32_e32 v3, 0xfffff, v16
	v_add_u32_e32 v5, v3, v2
	v_cmp_ne_u32_e32 vcc, 0, v17
                                        ; implicit-def: $vgpr2_vgpr3
                                        ; implicit-def: $vgpr18
	s_and_saveexec_b64 s[0:1], vcc
	s_xor_b64 s[0:1], exec, s[0:1]
; %bb.1179:                             ;   in Loop: Header=BB18_1083 Depth=1
	v_cmp_lt_u64_e32 vcc, s[10:11], v[5:6]
	v_add_u32_e32 v2, 7, v22
	v_cndmask_b32_e32 v18, v17, v2, vcc
	v_cndmask_b32_e64 v2, 0, 1, vcc
	v_lshrrev_b64 v[2:3], v2, v[5:6]
; %bb.1180:                             ;   in Loop: Header=BB18_1083 Depth=1
	s_andn2_saveexec_b64 s[0:1], s[0:1]
; %bb.1181:                             ;   in Loop: Header=BB18_1083 Depth=1
	v_mov_b32_e32 v2, v5
	v_bfe_u32 v18, v5, 23, 1
	v_mov_b32_e32 v3, v6
; %bb.1182:                             ;   in Loop: Header=BB18_1083 Depth=1
	s_or_b64 exec, exec, s[0:1]
	v_lshrrev_b64 v[2:3], 20, v[2:3]
	v_cmp_gt_i32_e32 vcc, 16, v18
	v_cndmask_b32_e32 v17, 0, v3, vcc
	v_cndmask_b32_e32 v16, 7, v2, vcc
	v_cmp_ne_u64_e32 vcc, 0, v[16:17]
	v_cmp_ne_u32_e64 s[0:1], 0, v18
	s_or_b64 s[0:1], s[0:1], vcc
	v_mov_b32_e32 v2, v15
	v_mov_b32_e32 v3, v16
	s_and_saveexec_b64 s[18:19], s[0:1]
	s_xor_b64 s[0:1], exec, s[18:19]
; %bb.1183:                             ;   in Loop: Header=BB18_1083 Depth=1
	v_min_i32_e32 v2, 15, v18
	v_lshl_or_b32 v2, v2, 3, v15
	v_and_or_b32 v2, v16, 7, v2
; %bb.1184:                             ;   in Loop: Header=BB18_1083 Depth=1
	s_andn2_saveexec_b64 s[0:1], s[0:1]
	s_or_b64 exec, exec, s[0:1]
.LBB18_1185:                            ;   in Loop: Header=BB18_1083 Depth=1
	s_or_b64 exec, exec, s[16:17]
                                        ; implicit-def: $vgpr15
.LBB18_1186:                            ;   in Loop: Header=BB18_1083 Depth=1
	s_andn2_saveexec_b64 s[0:1], s[14:15]
; %bb.1187:                             ;   in Loop: Header=BB18_1083 Depth=1
	v_or_b32_e32 v2, 0x7e, v15
; %bb.1188:                             ;   in Loop: Header=BB18_1083 Depth=1
	s_or_b64 exec, exec, s[0:1]
                                        ; implicit-def: $vgpr16
.LBB18_1189:                            ;   in Loop: Header=BB18_1083 Depth=1
	s_andn2_saveexec_b64 s[0:1], s[12:13]
; %bb.1190:                             ;   in Loop: Header=BB18_1083 Depth=1
	v_or_b32_sdwa v2, v16, s29 dst_sel:DWORD dst_unused:UNUSED_PAD src0_sel:BYTE_3 src1_sel:DWORD
; %bb.1191:                             ;   in Loop: Header=BB18_1083 Depth=1
	s_or_b64 exec, exec, s[0:1]
	v_cvt_f32_f16_e32 v3, v4
	v_div_scale_f32 v5, s[0:1], s33, s33, v3
	v_div_scale_f32 v15, vcc, v3, s33, v3
	v_rcp_f32_e32 v16, v5
	v_fma_f32 v17, -v5, v16, 1.0
	v_fmac_f32_e32 v16, v17, v16
	v_mul_f32_e32 v17, v15, v16
	v_fma_f32 v18, -v5, v17, v15
	v_fmac_f32_e32 v17, v18, v16
	v_fma_f32 v5, -v5, v17, v15
	v_div_fmas_f32 v5, v5, v16, v17
                                        ; implicit-def: $vgpr15_vgpr16
	v_div_fixup_f32 v3, v5, s33, v3
	v_cvt_f16_f32_e32 v3, v3
	v_cvt_f32_f16_e32 v17, v3
	v_and_b32_e32 v5, 0x7f800000, v17
	v_cmp_ne_u64_e32 vcc, s[6:7], v[5:6]
	s_and_saveexec_b64 s[0:1], vcc
	s_xor_b64 s[12:13], exec, s[0:1]
	s_cbranch_execz .LBB18_1207
; %bb.1192:                             ;   in Loop: Header=BB18_1083 Depth=1
	v_and_b32_e32 v5, 0x7fffffff, v17
	v_cmp_gt_u64_e32 vcc, s[8:9], v[5:6]
	v_and_b32_sdwa v3, v17, s25 dst_sel:DWORD dst_unused:UNUSED_PAD src0_sel:BYTE_3 src1_sel:DWORD
                                        ; implicit-def: $vgpr15_vgpr16
	s_and_saveexec_b64 s[0:1], vcc
	s_xor_b64 s[14:15], exec, s[0:1]
	s_cbranch_execz .LBB18_1204
; %bb.1193:                             ;   in Loop: Header=BB18_1083 Depth=1
	v_mov_b32_e32 v15, 0
	v_cmp_ne_u32_e32 vcc, 0, v17
	v_mov_b32_e32 v16, 0
	s_and_saveexec_b64 s[16:17], vcc
	s_cbranch_execz .LBB18_1203
; %bb.1194:                             ;   in Loop: Header=BB18_1083 Depth=1
	v_bfe_u32 v18, v17, 23, 8
	v_sub_u32_e32 v15, 0x79, v18
	v_cmp_gt_u32_e32 vcc, s28, v18
	v_cndmask_b32_e32 v15, 0, v15, vcc
	v_cmp_eq_u32_e32 vcc, 0, v18
	v_cndmask_b32_e32 v22, v15, v19, vcc
	v_and_b32_e32 v5, 0x7fffff, v17
	v_add_u32_e32 v15, 20, v22
	v_or_b32_e32 v17, 0x800000, v5
	v_lshlrev_b64 v[15:16], v15, -1
	v_cndmask_b32_e32 v5, v17, v5, vcc
	v_bfi_b32 v23, v15, 0, v5
	v_add_u32_e32 v15, 19, v22
	v_bfi_b32 v24, v16, 0, 0
	v_lshlrev_b64 v[25:26], v15, 1
	v_lshrrev_b64 v[15:16], v22, v[5:6]
	v_cmp_eq_u64_e64 s[0:1], v[23:24], v[25:26]
	v_mov_b32_e32 v17, v16
	v_mov_b32_e32 v16, v15
	s_and_saveexec_b64 s[18:19], s[0:1]
; %bb.1195:                             ;   in Loop: Header=BB18_1083 Depth=1
	v_bfe_u32 v5, v15, 20, 1
	v_add_co_u32_e64 v5, s[0:1], v15, v5
	v_add_co_u32_e64 v16, s[0:1], -1, v5
; %bb.1196:                             ;   in Loop: Header=BB18_1083 Depth=1
	s_or_b64 exec, exec, s[18:19]
	v_add_u32_e32 v5, 0xffffff81, v18
	v_cndmask_b32_e32 v5, v5, v20, vcc
	v_lshrrev_b32_e32 v17, 23, v15
	v_add3_u32 v18, v22, v5, v17
	v_add_u32_e32 v17, 6, v18
	v_and_b32_e32 v5, 0xfffff, v16
	v_add_u32_e32 v5, v5, v15
	v_cmp_ne_u32_e32 vcc, 0, v17
                                        ; implicit-def: $vgpr15_vgpr16
                                        ; implicit-def: $vgpr22
	s_and_saveexec_b64 s[0:1], vcc
	s_xor_b64 s[0:1], exec, s[0:1]
; %bb.1197:                             ;   in Loop: Header=BB18_1083 Depth=1
	v_cmp_lt_u64_e32 vcc, s[10:11], v[5:6]
	v_add_u32_e32 v15, 7, v18
	v_cndmask_b32_e32 v22, v17, v15, vcc
	v_cndmask_b32_e64 v15, 0, 1, vcc
	v_lshrrev_b64 v[15:16], v15, v[5:6]
; %bb.1198:                             ;   in Loop: Header=BB18_1083 Depth=1
	s_andn2_saveexec_b64 s[0:1], s[0:1]
; %bb.1199:                             ;   in Loop: Header=BB18_1083 Depth=1
	v_mov_b32_e32 v16, v6
	v_bfe_u32 v22, v5, 23, 1
	v_mov_b32_e32 v15, v5
; %bb.1200:                             ;   in Loop: Header=BB18_1083 Depth=1
	s_or_b64 exec, exec, s[0:1]
	v_lshrrev_b64 v[15:16], 20, v[15:16]
	v_cmp_gt_i32_e32 vcc, 16, v22
	v_cndmask_b32_e32 v18, 0, v16, vcc
	v_cndmask_b32_e32 v17, 7, v15, vcc
	v_cmp_ne_u64_e32 vcc, 0, v[17:18]
	v_cmp_ne_u32_e64 s[0:1], 0, v22
	v_mov_b32_e32 v16, v4
	s_or_b64 s[0:1], s[0:1], vcc
	v_mov_b32_e32 v15, v3
	s_and_saveexec_b64 s[18:19], s[0:1]
	s_xor_b64 s[0:1], exec, s[18:19]
; %bb.1201:                             ;   in Loop: Header=BB18_1083 Depth=1
	v_min_i32_e32 v5, 15, v22
	v_lshl_or_b32 v3, v5, 3, v3
	v_and_or_b32 v15, v17, 7, v3
; %bb.1202:                             ;   in Loop: Header=BB18_1083 Depth=1
	s_andn2_saveexec_b64 s[0:1], s[0:1]
	s_or_b64 exec, exec, s[0:1]
.LBB18_1203:                            ;   in Loop: Header=BB18_1083 Depth=1
	s_or_b64 exec, exec, s[16:17]
                                        ; implicit-def: $vgpr3
.LBB18_1204:                            ;   in Loop: Header=BB18_1083 Depth=1
	s_andn2_saveexec_b64 s[0:1], s[14:15]
; %bb.1205:                             ;   in Loop: Header=BB18_1083 Depth=1
	v_or_b32_e32 v15, 0x7e, v3
; %bb.1206:                             ;   in Loop: Header=BB18_1083 Depth=1
	s_or_b64 exec, exec, s[0:1]
                                        ; implicit-def: $vgpr17
.LBB18_1207:                            ;   in Loop: Header=BB18_1083 Depth=1
	s_andn2_saveexec_b64 s[0:1], s[12:13]
; %bb.1208:                             ;   in Loop: Header=BB18_1083 Depth=1
	v_or_b32_sdwa v15, v17, s29 dst_sel:DWORD dst_unused:UNUSED_PAD src0_sel:BYTE_3 src1_sel:DWORD
; %bb.1209:                             ;   in Loop: Header=BB18_1083 Depth=1
	s_or_b64 exec, exec, s[0:1]
	v_cvt_f32_f16_sdwa v3, v4 dst_sel:DWORD dst_unused:UNUSED_PAD src0_sel:WORD_1
	v_div_scale_f32 v4, s[0:1], s33, s33, v3
	v_div_scale_f32 v5, vcc, v3, s33, v3
	v_rcp_f32_e32 v16, v4
	v_fma_f32 v17, -v4, v16, 1.0
	v_fmac_f32_e32 v16, v17, v16
	v_mul_f32_e32 v17, v5, v16
	v_fma_f32 v18, -v4, v17, v5
	v_fmac_f32_e32 v17, v18, v16
	v_fma_f32 v4, -v4, v17, v5
	v_div_fmas_f32 v4, v4, v16, v17
	v_div_fixup_f32 v3, v4, s33, v3
	v_cvt_f16_f32_e32 v3, v3
	v_cvt_f32_f16_e32 v16, v3
	v_and_b32_e32 v5, 0x7f800000, v16
	v_cmp_ne_u64_e32 vcc, s[6:7], v[5:6]
                                        ; implicit-def: $vgpr4_vgpr5
	s_and_saveexec_b64 s[0:1], vcc
	s_xor_b64 s[12:13], exec, s[0:1]
	s_cbranch_execz .LBB18_1225
; %bb.1210:                             ;   in Loop: Header=BB18_1083 Depth=1
	v_and_b32_e32 v5, 0x7fffffff, v16
	v_cmp_gt_u64_e32 vcc, s[8:9], v[5:6]
	v_and_b32_sdwa v3, v16, s25 dst_sel:DWORD dst_unused:UNUSED_PAD src0_sel:BYTE_3 src1_sel:DWORD
                                        ; implicit-def: $vgpr4_vgpr5
	s_and_saveexec_b64 s[0:1], vcc
	s_xor_b64 s[14:15], exec, s[0:1]
	s_cbranch_execz .LBB18_1222
; %bb.1211:                             ;   in Loop: Header=BB18_1083 Depth=1
	v_mov_b32_e32 v4, 0
	v_cmp_ne_u32_e32 vcc, 0, v16
	v_mov_b32_e32 v5, 0
	s_and_saveexec_b64 s[16:17], vcc
	s_cbranch_execz .LBB18_1221
; %bb.1212:                             ;   in Loop: Header=BB18_1083 Depth=1
	v_bfe_u32 v18, v16, 23, 8
	v_sub_u32_e32 v5, 0x79, v18
	v_cmp_gt_u32_e32 vcc, s28, v18
	v_cndmask_b32_e32 v5, 0, v5, vcc
	v_cmp_eq_u32_e32 vcc, 0, v18
	v_cndmask_b32_e32 v22, v5, v19, vcc
	v_and_b32_e32 v4, 0x7fffff, v16
	v_add_u32_e32 v5, 20, v22
	v_or_b32_e32 v23, 0x800000, v4
	v_lshlrev_b64 v[16:17], v5, -1
	v_cndmask_b32_e32 v5, v23, v4, vcc
	v_add_u32_e32 v4, 19, v22
	v_bfi_b32 v16, v16, 0, v5
	v_lshlrev_b64 v[23:24], v4, 1
	v_lshrrev_b64 v[4:5], v22, v[5:6]
	v_bfi_b32 v17, v17, 0, 0
	v_cmp_eq_u64_e64 s[0:1], v[16:17], v[23:24]
	v_mov_b32_e32 v17, v5
	v_mov_b32_e32 v16, v4
	s_and_saveexec_b64 s[18:19], s[0:1]
; %bb.1213:                             ;   in Loop: Header=BB18_1083 Depth=1
	v_bfe_u32 v5, v4, 20, 1
	v_add_co_u32_e64 v5, s[0:1], v4, v5
	v_add_co_u32_e64 v16, s[0:1], -1, v5
; %bb.1214:                             ;   in Loop: Header=BB18_1083 Depth=1
	s_or_b64 exec, exec, s[18:19]
	v_add_u32_e32 v5, 0xffffff81, v18
	v_cndmask_b32_e32 v5, v5, v20, vcc
	v_lshrrev_b32_e32 v17, 23, v4
	v_add3_u32 v23, v22, v5, v17
	v_add_u32_e32 v22, 6, v23
	v_and_b32_e32 v5, 0xfffff, v16
	v_add_u32_e32 v5, v5, v4
	v_cmp_ne_u32_e32 vcc, 0, v22
                                        ; implicit-def: $vgpr16_vgpr17
                                        ; implicit-def: $vgpr18
	s_and_saveexec_b64 s[0:1], vcc
	s_xor_b64 s[0:1], exec, s[0:1]
; %bb.1215:                             ;   in Loop: Header=BB18_1083 Depth=1
	v_cmp_lt_u64_e32 vcc, s[10:11], v[5:6]
	v_add_u32_e32 v4, 7, v23
	v_cndmask_b32_e32 v18, v22, v4, vcc
	v_cndmask_b32_e64 v4, 0, 1, vcc
	v_lshrrev_b64 v[16:17], v4, v[5:6]
; %bb.1216:                             ;   in Loop: Header=BB18_1083 Depth=1
	s_andn2_saveexec_b64 s[0:1], s[0:1]
; %bb.1217:                             ;   in Loop: Header=BB18_1083 Depth=1
	v_mov_b32_e32 v17, v6
	v_bfe_u32 v18, v5, 23, 1
	v_mov_b32_e32 v16, v5
; %bb.1218:                             ;   in Loop: Header=BB18_1083 Depth=1
	s_or_b64 exec, exec, s[0:1]
	v_lshrrev_b64 v[4:5], 20, v[16:17]
	v_cmp_gt_i32_e32 vcc, 16, v18
	v_cndmask_b32_e32 v17, 0, v5, vcc
	v_cndmask_b32_e32 v16, 7, v4, vcc
	v_cmp_ne_u64_e32 vcc, 0, v[16:17]
	v_cmp_ne_u32_e64 s[0:1], 0, v18
	v_mov_b32_e32 v5, v4
	s_or_b64 s[0:1], s[0:1], vcc
	v_mov_b32_e32 v4, v3
	s_and_saveexec_b64 s[18:19], s[0:1]
	s_xor_b64 s[0:1], exec, s[18:19]
; %bb.1219:                             ;   in Loop: Header=BB18_1083 Depth=1
	v_min_i32_e32 v4, 15, v18
	v_lshl_or_b32 v3, v4, 3, v3
	v_and_or_b32 v4, v16, 7, v3
; %bb.1220:                             ;   in Loop: Header=BB18_1083 Depth=1
	s_andn2_saveexec_b64 s[0:1], s[0:1]
	s_or_b64 exec, exec, s[0:1]
.LBB18_1221:                            ;   in Loop: Header=BB18_1083 Depth=1
	s_or_b64 exec, exec, s[16:17]
                                        ; implicit-def: $vgpr3
.LBB18_1222:                            ;   in Loop: Header=BB18_1083 Depth=1
	s_andn2_saveexec_b64 s[0:1], s[14:15]
; %bb.1223:                             ;   in Loop: Header=BB18_1083 Depth=1
	v_or_b32_e32 v4, 0x7e, v3
; %bb.1224:                             ;   in Loop: Header=BB18_1083 Depth=1
	s_or_b64 exec, exec, s[0:1]
                                        ; implicit-def: $vgpr16
.LBB18_1225:                            ;   in Loop: Header=BB18_1083 Depth=1
	s_andn2_saveexec_b64 s[0:1], s[12:13]
	s_cbranch_execz .LBB18_1082
; %bb.1226:                             ;   in Loop: Header=BB18_1083 Depth=1
	v_or_b32_sdwa v4, v16, s29 dst_sel:DWORD dst_unused:UNUSED_PAD src0_sel:BYTE_3 src1_sel:DWORD
	s_branch .LBB18_1082
.LBB18_1227:
	s_or_b64 exec, exec, s[2:3]
	v_lshl_add_u32 v1, s20, 3, v0
	v_cmp_gt_i32_e32 vcc, s40, v1
	s_and_saveexec_b64 s[24:25], vcc
	s_cbranch_execz .LBB18_1255
; %bb.1228:
	v_add_u32_e32 v2, 1, v1
	v_max_i32_e32 v2, s40, v2
	s_and_b32 s0, s62, 0xffff
	v_sub_u32_e32 v11, v2, v1
	s_cmp_eq_u32 s0, 1
	v_cmp_lt_u32_e32 vcc, 1, v11
	s_cselect_b64 s[0:1], -1, 0
	s_and_b64 s[2:3], vcc, s[0:1]
	s_mov_b64 s[0:1], -1
	s_and_saveexec_b64 s[28:29], s[2:3]
	s_cbranch_execz .LBB18_1232
; %bb.1229:
	s_lshl_b64 s[0:1], s[22:23], 1
	s_add_u32 s41, s67, s0
	s_addc_u32 s0, s68, s1
	s_add_u32 s42, s69, s22
	s_addc_u32 s1, s70, s23
	v_and_b32_e32 v12, -2, v11
	s_mov_b32 s43, s33
	s_mov_b64 s[36:37], 0
	v_mov_b32_e32 v13, s1
	v_mov_b32_e32 v14, s0
	s_movk_i32 s44, 0x80
	s_mov_b32 s45, 0x7f800000
	s_mov_b32 s46, 0x43e00001
	s_movk_i32 s47, 0xff81
	s_movk_i32 s49, 0x7a
	;; [unrolled: 1-line block ×3, first 2 shown]
	v_mov_b32_e32 v15, 0xffffff82
	v_mov_b32_e32 v16, 0x78
	;; [unrolled: 1-line block ×3, first 2 shown]
	s_mov_b64 s[38:39], 0xffffff
	s_movk_i32 s51, 0x7f
	v_mov_b32_e32 v4, v1
	v_mov_b32_e32 v17, v12
.LBB18_1230:                            ; =>This Inner Loop Header: Depth=1
	v_ashrrev_i32_e32 v5, 31, v4
	v_add_co_u32_e32 v9, vcc, s42, v4
	v_lshlrev_b64 v[18:19], 1, v[4:5]
	v_addc_co_u32_e32 v10, vcc, v13, v5, vcc
	v_add_co_u32_e32 v18, vcc, s41, v18
	v_addc_co_u32_e32 v19, vcc, v14, v19, vcc
	global_load_dword v2, v[18:19], off
	v_mov_b32_e32 v6, v3
	v_mov_b32_e32 v7, v3
	;; [unrolled: 1-line block ×3, first 2 shown]
	v_add_u32_e32 v17, -2, v17
	v_cmp_eq_u32_e64 s[0:1], 0, v17
	v_add_u32_e32 v4, 2, v4
	s_waitcnt vmcnt(0)
	v_cvt_f32_f16_e32 v5, v2
	v_cvt_f32_f16_sdwa v2, v2 dst_sel:DWORD dst_unused:UNUSED_PAD src0_sel:WORD_1
	v_div_scale_f32 v18, s[2:3], s33, s33, v5
	v_div_scale_f32 v19, s[2:3], s43, s43, v2
	v_div_scale_f32 v20, vcc, v5, s33, v5
	v_div_scale_f32 v21, s[2:3], v2, s43, v2
	v_rcp_f32_e32 v22, v18
	v_rcp_f32_e32 v23, v19
	v_fma_f32 v24, -v18, v22, 1.0
	v_fmac_f32_e32 v22, v24, v22
	v_fma_f32 v25, -v19, v23, 1.0
	v_fmac_f32_e32 v23, v25, v23
	v_mul_f32_e32 v24, v20, v22
	v_mul_f32_e32 v25, v21, v23
	v_fma_f32 v26, -v18, v24, v20
	v_fma_f32 v27, -v19, v25, v21
	v_fmac_f32_e32 v24, v26, v22
	v_fmac_f32_e32 v25, v27, v23
	v_fma_f32 v18, -v18, v24, v20
	v_fma_f32 v19, -v19, v25, v21
	v_div_fmas_f32 v18, v18, v22, v24
	s_mov_b64 vcc, s[2:3]
	v_div_fmas_f32 v19, v19, v23, v25
	v_div_fixup_f32 v5, v18, s33, v5
	v_cvt_f16_f32_e32 v5, v5
	v_div_fixup_f32 v2, v19, s43, v2
	v_cvt_f16_f32_e32 v2, v2
	v_cvt_f32_f16_e32 v5, v5
	v_cvt_f32_f16_e32 v2, v2
	v_lshrrev_b32_e32 v19, 23, v5
	v_and_b32_e32 v18, 0x7fffff, v5
	v_lshrrev_b32_e32 v22, 23, v2
	v_sub_u32_sdwa v24, s50, v19 dst_sel:DWORD dst_unused:UNUSED_PAD src0_sel:DWORD src1_sel:BYTE_0
	v_cmp_lt_u32_sdwa s[8:9], v19, s49 src0_sel:BYTE_0 src1_sel:DWORD
	v_and_b32_sdwa v28, v5, s44 dst_sel:DWORD dst_unused:UNUSED_PAD src0_sel:BYTE_3 src1_sel:DWORD
	v_and_b32_e32 v20, 0x7fffffff, v5
	v_cmp_ne_u32_e64 s[12:13], 0, v5
	v_and_b32_e32 v21, 0x7f800000, v5
	v_cmp_eq_u32_e32 vcc, 0, v5
	v_or_b32_sdwa v29, v5, s51 dst_sel:DWORD dst_unused:UNUSED_PAD src0_sel:BYTE_3 src1_sel:DWORD
	v_and_b32_e32 v5, 0x7fffff, v2
	v_add_u32_sdwa v23, v19, s47 dst_sel:DWORD dst_unused:UNUSED_PAD src0_sel:BYTE_0 src1_sel:DWORD
	v_cmp_eq_u32_sdwa s[14:15], v19, v3 src0_sel:BYTE_0 src1_sel:DWORD
	v_or_b32_e32 v19, 0x800000, v18
	v_sub_u32_sdwa v26, s50, v22 dst_sel:DWORD dst_unused:UNUSED_PAD src0_sel:DWORD src1_sel:BYTE_0
	v_cndmask_b32_e64 v24, 0, v24, s[8:9]
	v_cmp_lt_u32_sdwa s[20:21], v22, s49 src0_sel:BYTE_0 src1_sel:DWORD
	v_cmp_gt_u32_e64 s[4:5], s46, v20
	v_and_b32_sdwa v31, v2, s44 dst_sel:DWORD dst_unused:UNUSED_PAD src0_sel:BYTE_3 src1_sel:DWORD
	v_and_b32_e32 v20, 0x7f800000, v2
	v_cmp_ne_u32_e64 s[2:3], s45, v21
	v_and_b32_e32 v21, 0x7fffffff, v2
	v_cmp_eq_u32_e64 s[6:7], 0, v2
	v_cmp_ne_u32_e64 s[16:17], 0, v2
	v_or_b32_sdwa v32, v2, s51 dst_sel:DWORD dst_unused:UNUSED_PAD src0_sel:BYTE_3 src1_sel:DWORD
	v_cmp_eq_u32_sdwa s[18:19], v22, v3 src0_sel:BYTE_0 src1_sel:DWORD
	v_cndmask_b32_e64 v2, v19, v18, s[14:15]
	v_or_b32_e32 v18, 0x800000, v5
	v_cndmask_b32_e64 v19, 0, v26, s[20:21]
	v_cndmask_b32_e64 v36, v24, v16, s[14:15]
	v_cmp_ne_u32_e64 s[8:9], s45, v20
	v_cndmask_b32_e64 v5, v18, v5, s[18:19]
	v_cndmask_b32_e64 v37, v19, v16, s[18:19]
	v_add_u32_e32 v20, 20, v36
	v_lshrrev_b64 v[18:19], v36, v[2:3]
	v_add_u32_sdwa v25, v22, s47 dst_sel:DWORD dst_unused:UNUSED_PAD src0_sel:BYTE_0 src1_sel:DWORD
	v_cmp_gt_u32_e64 s[10:11], s46, v21
	v_add_u32_e32 v21, 19, v36
	v_lshlrev_b64 v[19:20], v20, -1
	v_cndmask_b32_e64 v33, v23, v15, s[14:15]
	v_cndmask_b32_e64 v35, v25, v15, s[18:19]
	v_lshlrev_b64 v[21:22], v21, 1
	v_add_u32_e32 v25, 20, v37
	v_lshrrev_b64 v[23:24], v37, v[5:6]
	v_add_u32_e32 v26, 19, v37
	v_lshlrev_b64 v[24:25], v25, -1
	v_bfi_b32 v20, v20, 0, 0
	v_bfi_b32 v19, v19, 0, v2
	v_lshlrev_b64 v[26:27], v26, 1
	v_bfe_u32 v6, v18, 20, 1
	v_cmp_ne_u64_e64 s[14:15], v[19:20], v[21:22]
	s_and_b64 s[52:53], s[2:3], s[4:5]
	v_add3_u32 v2, v18, v6, -1
	v_bfi_b32 v6, v25, 0, 0
	v_bfi_b32 v5, v24, 0, v5
	s_and_b64 s[54:55], s[52:53], s[12:13]
	v_cmp_ne_u64_e64 s[18:19], v[5:6], v[26:27]
	s_and_b64 s[12:13], s[12:13], s[14:15]
	v_lshrrev_b32_e32 v38, 23, v18
	s_and_b64 s[12:13], s[12:13], s[4:5]
	v_add3_u32 v33, v36, v33, v38
	v_bfe_u32 v38, v23, 20, 1
	v_cndmask_b32_e64 v2, v2, v18, s[12:13]
	s_and_b64 s[12:13], s[16:17], s[18:19]
	v_add3_u32 v20, v23, v38, -1
	s_and_b64 s[12:13], s[12:13], s[10:11]
	v_and_b32_e32 v2, 0xfffff, v2
	v_cndmask_b32_e64 v6, v20, v23, s[12:13]
	v_add_u32_e32 v2, v2, v18
	v_and_b32_e32 v6, 0xfffff, v6
	s_and_b64 s[20:21], s[8:9], s[10:11]
	v_lshrrev_b32_e32 v36, 23, v23
	v_add_u32_e32 v21, 6, v33
	v_add_u32_e32 v6, v6, v23
	v_cmp_lt_u64_e64 s[12:13], s[38:39], v[2:3]
	s_and_b64 s[56:57], s[20:21], s[16:17]
	v_add3_u32 v19, v37, v35, v36
	v_add_u32_e32 v22, 7, v33
	v_lshrrev_b32_e32 v20, 23, v2
	v_cmp_ne_u32_e64 s[14:15], 0, v21
	v_cmp_lt_u64_e64 s[16:17], s[38:39], v[6:7]
	v_add_u32_e32 v5, 6, v19
	v_add_u32_e32 v19, 7, v19
	v_cndmask_b32_e64 v18, v21, v22, s[12:13]
	v_and_b32_e32 v20, 1, v20
	v_lshrrev_b32_e32 v21, 23, v6
	s_and_b64 s[12:13], s[14:15], s[12:13]
	v_cndmask_b32_e64 v19, v5, v19, s[16:17]
	v_and_b32_e32 v21, 1, v21
	v_cndmask_b32_e64 v20, v20, v18, s[14:15]
	v_cndmask_b32_e64 v18, 0, 1, s[12:13]
	v_cmp_ne_u32_e64 s[12:13], 0, v5
	v_cndmask_b32_e64 v21, v21, v19, s[12:13]
	s_and_b64 s[12:13], s[12:13], s[16:17]
	v_cndmask_b32_e64 v5, 0, 1, s[12:13]
	v_lshrrev_b64 v[18:19], v18, v[2:3]
	v_cmp_eq_u32_e64 s[12:13], 0, v20
	v_min_i32_e32 v2, 15, v20
	v_lshrrev_b64 v[5:6], v5, v[6:7]
	v_lshlrev_b32_e32 v2, 3, v2
	s_and_b64 s[16:17], s[54:55], s[12:13]
	v_lshrrev_b32_e32 v7, 20, v18
	v_cmp_gt_i32_e64 s[12:13], 16, v20
	v_or_b32_e32 v18, v2, v28
	v_lshrrev_b32_e32 v2, 20, v5
	v_cndmask_b32_e64 v7, 7, v7, s[12:13]
	v_cmp_gt_i32_e64 s[12:13], 16, v21
	v_cmp_eq_u32_e64 s[14:15], 0, v21
	v_min_i32_e32 v6, 15, v21
	v_cndmask_b32_e64 v2, 7, v2, s[12:13]
	v_cmp_eq_u64_e64 s[12:13], 0, v[7:8]
	v_lshlrev_b32_e32 v6, 3, v6
	s_and_b64 s[18:19], s[56:57], s[14:15]
	v_cmp_eq_u64_e64 s[14:15], 0, v[2:3]
	v_or_b32_e32 v5, v6, v31
	v_and_or_b32 v6, v7, 7, v18
	s_and_b64 s[12:13], s[16:17], s[12:13]
	v_and_or_b32 v2, v2, 7, v5
	v_cndmask_b32_e64 v5, v6, v28, s[12:13]
	s_and_b64 s[12:13], s[52:53], vcc
	s_and_b64 vcc, s[18:19], s[14:15]
	v_cndmask_b32_e32 v2, v2, v31, vcc
	s_and_b64 s[6:7], s[20:21], s[6:7]
	v_or_b32_e32 v34, 0x7e, v31
	v_cndmask_b32_e64 v2, v2, 0, s[6:7]
	v_or_b32_e32 v30, 0x7e, v28
	v_cndmask_b32_e64 v5, v5, 0, s[12:13]
	v_cndmask_b32_e64 v2, v34, v2, s[10:11]
	;; [unrolled: 1-line block ×5, first 2 shown]
	v_lshlrev_b16_e32 v2, 8, v2
	s_or_b64 s[36:37], s[0:1], s[36:37]
	v_or_b32_sdwa v2, v5, v2 dst_sel:DWORD dst_unused:UNUSED_PAD src0_sel:BYTE_0 src1_sel:DWORD
	global_store_short v[9:10], v2, off
	s_andn2_b64 exec, exec, s[36:37]
	s_cbranch_execnz .LBB18_1230
; %bb.1231:
	s_or_b64 exec, exec, s[36:37]
	v_cmp_ne_u32_e32 vcc, v11, v12
	v_add_u32_e32 v1, v1, v12
	s_orn2_b64 s[0:1], vcc, exec
.LBB18_1232:
	s_or_b64 exec, exec, s[28:29]
	s_and_b64 exec, exec, s[0:1]
	s_cbranch_execz .LBB18_1255
; %bb.1233:
	s_lshl_b64 s[0:1], s[22:23], 1
	s_add_u32 s0, s34, s0
	s_addc_u32 s1, s35, s1
	v_ashrrev_i32_e32 v2, 31, v1
	v_lshlrev_b64 v[4:5], 1, v[1:2]
	s_add_u32 s0, s26, s0
	s_addc_u32 s1, s27, s1
	s_lshl_b32 s20, s62, 1
	v_add_co_u32_e32 v4, vcc, s0, v4
	s_add_u32 s0, s22, s64
	v_mov_b32_e32 v6, s1
	s_addc_u32 s1, s23, s63
	s_add_u32 s0, s0, s66
	s_addc_u32 s1, s1, s65
	s_add_u32 s0, s30, s0
	v_addc_co_u32_e32 v5, vcc, v6, v5, vcc
	s_addc_u32 s1, s31, s1
	v_mov_b32_e32 v6, s1
	v_add_co_u32_e32 v9, vcc, s0, v1
	v_mov_b32_e32 v3, 0
	v_addc_co_u32_e32 v10, vcc, v6, v2, vcc
	s_mov_b64 s[2:3], 0
	s_mov_b64 s[4:5], 0x7f800000
	s_movk_i32 s21, 0x80
	s_mov_b64 s[6:7], 0x43e00001
	s_movk_i32 s22, 0x7a
	;; [unrolled: 2-line block ×3, first 2 shown]
	v_mov_b32_e32 v11, 0x78
	v_mov_b32_e32 v12, 0xffffff82
	s_mov_b64 s[10:11], 0
	s_branch .LBB18_1235
.LBB18_1234:                            ;   in Loop: Header=BB18_1235 Depth=1
	s_or_b64 exec, exec, s[0:1]
	v_mov_b32_e32 v7, s11
	v_add_co_u32_e32 v6, vcc, s10, v9
	v_addc_co_u32_e32 v7, vcc, v10, v7, vcc
	s_add_u32 s10, s10, s62
	global_store_byte v[6:7], v2, off
	v_add_u32_e32 v2, s10, v1
	s_addc_u32 s11, s11, 0
	v_cmp_le_i32_e32 vcc, s40, v2
	s_or_b64 s[2:3], vcc, s[2:3]
	v_add_co_u32_e32 v4, vcc, s20, v4
	v_addc_co_u32_e32 v5, vcc, 0, v5, vcc
	s_andn2_b64 exec, exec, s[2:3]
	s_cbranch_execz .LBB18_1255
.LBB18_1235:                            ; =>This Inner Loop Header: Depth=1
	global_load_ushort v2, v[4:5], off
	s_waitcnt vmcnt(0)
	v_cvt_f32_f16_e32 v2, v2
	v_div_scale_f32 v6, s[0:1], s33, s33, v2
	v_div_scale_f32 v7, vcc, v2, s33, v2
	v_rcp_f32_e32 v8, v6
	v_fma_f32 v13, -v6, v8, 1.0
	v_fmac_f32_e32 v8, v13, v8
	v_mul_f32_e32 v13, v7, v8
	v_fma_f32 v14, -v6, v13, v7
	v_fmac_f32_e32 v13, v14, v8
	v_fma_f32 v6, -v6, v13, v7
	v_div_fmas_f32 v6, v6, v8, v13
	v_div_fixup_f32 v2, v6, s33, v2
	v_cvt_f16_f32_e32 v2, v2
	v_cvt_f32_f16_e32 v6, v2
	v_and_b32_e32 v2, 0x7f800000, v6
	v_cmp_ne_u64_e32 vcc, s[4:5], v[2:3]
                                        ; implicit-def: $vgpr2
	s_and_saveexec_b64 s[0:1], vcc
	s_xor_b64 s[12:13], exec, s[0:1]
	s_cbranch_execz .LBB18_1253
; %bb.1236:                             ;   in Loop: Header=BB18_1235 Depth=1
	v_and_b32_e32 v2, 0x7fffffff, v6
	v_cmp_gt_u64_e32 vcc, s[6:7], v[2:3]
	v_and_b32_sdwa v13, v6, s21 dst_sel:DWORD dst_unused:UNUSED_PAD src0_sel:BYTE_3 src1_sel:DWORD
                                        ; implicit-def: $vgpr2
	s_and_saveexec_b64 s[0:1], vcc
	s_xor_b64 s[14:15], exec, s[0:1]
	s_cbranch_execz .LBB18_1250
; %bb.1237:                             ;   in Loop: Header=BB18_1235 Depth=1
	v_cmp_ne_u32_e32 vcc, 0, v6
	v_mov_b32_e32 v2, 0
	s_and_saveexec_b64 s[16:17], vcc
	s_cbranch_execz .LBB18_1249
; %bb.1238:                             ;   in Loop: Header=BB18_1235 Depth=1
	v_bfe_u32 v14, v6, 23, 8
	v_and_b32_e32 v2, 0x7fffff, v6
	v_sub_u32_e32 v6, 0x79, v14
	v_cmp_gt_u32_e32 vcc, s22, v14
	v_cndmask_b32_e32 v6, 0, v6, vcc
	v_cmp_eq_u32_e32 vcc, 0, v14
	v_cndmask_b32_e32 v15, v6, v11, vcc
	v_add_u32_e32 v6, 20, v15
	v_or_b32_e32 v8, 0x800000, v2
	v_lshlrev_b64 v[6:7], v6, -1
	v_cndmask_b32_e32 v2, v8, v2, vcc
	v_bfi_b32 v16, v6, 0, v2
	v_add_u32_e32 v6, 19, v15
	v_bfi_b32 v17, v7, 0, 0
	v_lshlrev_b64 v[18:19], v6, 1
	v_lshrrev_b64 v[6:7], v15, v[2:3]
	v_cmp_eq_u64_e64 s[0:1], v[16:17], v[18:19]
	v_mov_b32_e32 v8, v7
	v_mov_b32_e32 v7, v6
	s_and_saveexec_b64 s[18:19], s[0:1]
; %bb.1239:                             ;   in Loop: Header=BB18_1235 Depth=1
	v_bfe_u32 v2, v6, 20, 1
	v_add_co_u32_e64 v2, s[0:1], v6, v2
	v_add_co_u32_e64 v7, s[0:1], -1, v2
; %bb.1240:                             ;   in Loop: Header=BB18_1235 Depth=1
	s_or_b64 exec, exec, s[18:19]
	v_add_u32_e32 v2, 0xffffff81, v14
	v_cndmask_b32_e32 v2, v2, v12, vcc
	v_lshrrev_b32_e32 v8, 23, v6
	v_add3_u32 v15, v15, v2, v8
	v_add_u32_e32 v14, 6, v15
	v_and_b32_e32 v2, 0xfffff, v7
	v_add_u32_e32 v2, v2, v6
	v_cmp_ne_u32_e32 vcc, 0, v14
                                        ; implicit-def: $vgpr6_vgpr7
                                        ; implicit-def: $vgpr8
	s_and_saveexec_b64 s[0:1], vcc
	s_xor_b64 s[0:1], exec, s[0:1]
; %bb.1241:                             ;   in Loop: Header=BB18_1235 Depth=1
	v_cmp_lt_u64_e32 vcc, s[8:9], v[2:3]
	v_add_u32_e32 v6, 7, v15
	v_cndmask_b32_e32 v8, v14, v6, vcc
	v_cndmask_b32_e64 v6, 0, 1, vcc
	v_lshrrev_b64 v[6:7], v6, v[2:3]
; %bb.1242:                             ;   in Loop: Header=BB18_1235 Depth=1
	s_andn2_saveexec_b64 s[0:1], s[0:1]
; %bb.1243:                             ;   in Loop: Header=BB18_1235 Depth=1
	v_mov_b32_e32 v7, v3
	v_bfe_u32 v8, v2, 23, 1
	v_mov_b32_e32 v6, v2
; %bb.1244:                             ;   in Loop: Header=BB18_1235 Depth=1
	s_or_b64 exec, exec, s[0:1]
	v_lshrrev_b64 v[6:7], 20, v[6:7]
	v_cmp_gt_i32_e32 vcc, 16, v8
	v_cndmask_b32_e32 v7, 0, v7, vcc
	v_cndmask_b32_e32 v6, 7, v6, vcc
	v_cmp_ne_u64_e32 vcc, 0, v[6:7]
	v_cmp_ne_u32_e64 s[0:1], 0, v8
	s_or_b64 s[0:1], s[0:1], vcc
                                        ; implicit-def: $vgpr2
	s_and_saveexec_b64 s[18:19], s[0:1]
	s_xor_b64 s[0:1], exec, s[18:19]
; %bb.1245:                             ;   in Loop: Header=BB18_1235 Depth=1
	v_min_i32_e32 v2, 15, v8
	v_lshl_or_b32 v2, v2, 3, v13
	v_and_or_b32 v2, v6, 7, v2
                                        ; implicit-def: $vgpr13
; %bb.1246:                             ;   in Loop: Header=BB18_1235 Depth=1
	s_andn2_saveexec_b64 s[0:1], s[0:1]
; %bb.1247:                             ;   in Loop: Header=BB18_1235 Depth=1
	v_mov_b32_e32 v2, v13
; %bb.1248:                             ;   in Loop: Header=BB18_1235 Depth=1
	s_or_b64 exec, exec, s[0:1]
.LBB18_1249:                            ;   in Loop: Header=BB18_1235 Depth=1
	s_or_b64 exec, exec, s[16:17]
                                        ; implicit-def: $vgpr13
.LBB18_1250:                            ;   in Loop: Header=BB18_1235 Depth=1
	s_andn2_saveexec_b64 s[0:1], s[14:15]
; %bb.1251:                             ;   in Loop: Header=BB18_1235 Depth=1
	v_or_b32_e32 v2, 0x7e, v13
; %bb.1252:                             ;   in Loop: Header=BB18_1235 Depth=1
	s_or_b64 exec, exec, s[0:1]
                                        ; implicit-def: $vgpr6
.LBB18_1253:                            ;   in Loop: Header=BB18_1235 Depth=1
	s_andn2_saveexec_b64 s[0:1], s[12:13]
	s_cbranch_execz .LBB18_1234
; %bb.1254:                             ;   in Loop: Header=BB18_1235 Depth=1
	v_or_b32_sdwa v2, v6, s23 dst_sel:DWORD dst_unused:UNUSED_PAD src0_sel:BYTE_3 src1_sel:DWORD
	s_branch .LBB18_1234
.LBB18_1255:
	s_or_b64 exec, exec, s[24:25]
	s_mov_b64 s[0:1], 0
.LBB18_1256:
	s_and_b64 vcc, exec, s[0:1]
	s_cbranch_vccz .LBB18_1404
; %bb.1257:
	s_ashr_i32 s18, s48, 3
	v_cmp_gt_i32_e32 vcc, s18, v0
	s_and_saveexec_b64 s[0:1], vcc
	s_cbranch_execz .LBB18_1404
; %bb.1258:
	s_add_u32 s0, s64, s66
	s_addc_u32 s1, s63, s65
	s_add_u32 s0, s30, s0
	v_lshlrev_b32_e32 v1, 3, v0
	s_addc_u32 s1, s31, s1
	s_lshl_b32 s19, s62, 3
	v_mov_b32_e32 v2, s1
	v_add_co_u32_e32 v7, vcc, s0, v1
	s_add_u32 s0, s26, s34
	v_addc_co_u32_e32 v8, vcc, 0, v2, vcc
	v_lshlrev_b32_e32 v1, 4, v0
	s_addc_u32 s1, s27, s35
	v_mov_b32_e32 v2, s1
	v_add_co_u32_e32 v9, vcc, s0, v1
	v_mov_b32_e32 v6, 0
	v_addc_co_u32_e32 v10, vcc, 0, v2, vcc
	s_lshl_b32 s20, s62, 4
	s_mov_b64 s[2:3], 0
	s_mov_b64 s[4:5], 0x7f800000
	s_movk_i32 s21, 0x80
	s_mov_b64 s[6:7], 0x43e00001
	s_movk_i32 s22, 0x7a
	;; [unrolled: 2-line block ×3, first 2 shown]
	s_mov_b32 s24, 0xff00
	s_mov_b32 s25, 0x4020c0c
	v_mov_b32_e32 v19, 0x78
	v_mov_b32_e32 v20, 0xffffff82
	s_branch .LBB18_1260
.LBB18_1259:                            ;   in Loop: Header=BB18_1260 Depth=1
	s_or_b64 exec, exec, s[0:1]
	v_lshlrev_b32_e32 v3, 24, v4
	v_lshlrev_b32_e32 v4, 16, v15
	v_and_b32_e32 v4, 0xff0000, v4
	v_lshlrev_b32_e32 v2, 8, v2
	v_or_b32_e32 v3, v3, v4
	v_and_b32_e32 v2, 0xff00, v2
	v_and_b32_e32 v4, 0xff, v14
	v_or3_b32 v2, v3, v2, v4
	v_lshlrev_b32_e32 v3, 16, v13
	v_lshlrev_b32_e32 v4, 8, v12
	v_perm_b32 v1, v1, v3, s25
	v_and_or_b32 v1, v4, s24, v1
	v_or_b32_sdwa v1, v1, v11 dst_sel:DWORD dst_unused:UNUSED_PAD src0_sel:DWORD src1_sel:BYTE_0
	global_store_dwordx2 v[7:8], v[1:2], off
	v_add_co_u32_e32 v7, vcc, s19, v7
	v_add_u32_e32 v0, s62, v0
	v_addc_co_u32_e32 v8, vcc, 0, v8, vcc
	v_cmp_le_i32_e32 vcc, s18, v0
	s_or_b64 s[2:3], vcc, s[2:3]
	v_add_co_u32_e32 v9, vcc, s20, v9
	v_addc_co_u32_e32 v10, vcc, 0, v10, vcc
	s_andn2_b64 exec, exec, s[2:3]
	s_cbranch_execz .LBB18_1404
.LBB18_1260:                            ; =>This Inner Loop Header: Depth=1
	global_load_dwordx4 v[1:4], v[9:10], off
	s_waitcnt vmcnt(0)
	v_cvt_f32_f16_e32 v5, v1
	v_div_scale_f32 v11, s[0:1], s33, s33, v5
	v_div_scale_f32 v12, vcc, v5, s33, v5
	v_rcp_f32_e32 v13, v11
	v_fma_f32 v14, -v11, v13, 1.0
	v_fmac_f32_e32 v13, v14, v13
	v_mul_f32_e32 v14, v12, v13
	v_fma_f32 v15, -v11, v14, v12
	v_fmac_f32_e32 v14, v15, v13
	v_fma_f32 v11, -v11, v14, v12
	v_div_fmas_f32 v11, v11, v13, v14
	v_div_fixup_f32 v5, v11, s33, v5
	v_cvt_f16_f32_e32 v5, v5
                                        ; implicit-def: $vgpr11_vgpr12
	v_cvt_f32_f16_e32 v14, v5
	v_and_b32_e32 v5, 0x7f800000, v14
	v_cmp_ne_u64_e32 vcc, s[4:5], v[5:6]
	s_and_saveexec_b64 s[0:1], vcc
	s_xor_b64 s[10:11], exec, s[0:1]
	s_cbranch_execz .LBB18_1276
; %bb.1261:                             ;   in Loop: Header=BB18_1260 Depth=1
	v_and_b32_e32 v5, 0x7fffffff, v14
	v_cmp_gt_u64_e32 vcc, s[6:7], v[5:6]
	v_and_b32_sdwa v13, v14, s21 dst_sel:DWORD dst_unused:UNUSED_PAD src0_sel:BYTE_3 src1_sel:DWORD
                                        ; implicit-def: $vgpr11_vgpr12
	s_and_saveexec_b64 s[0:1], vcc
	s_xor_b64 s[12:13], exec, s[0:1]
	s_cbranch_execz .LBB18_1273
; %bb.1262:                             ;   in Loop: Header=BB18_1260 Depth=1
	v_mov_b32_e32 v11, 0
	v_cmp_ne_u32_e32 vcc, 0, v14
	v_mov_b32_e32 v12, 0
	s_and_saveexec_b64 s[14:15], vcc
	s_cbranch_execz .LBB18_1272
; %bb.1263:                             ;   in Loop: Header=BB18_1260 Depth=1
	v_bfe_u32 v16, v14, 23, 8
	v_sub_u32_e32 v11, 0x79, v16
	v_cmp_gt_u32_e32 vcc, s22, v16
	v_cndmask_b32_e32 v11, 0, v11, vcc
	v_cmp_eq_u32_e32 vcc, 0, v16
	v_cndmask_b32_e32 v17, v11, v19, vcc
	v_and_b32_e32 v5, 0x7fffff, v14
	v_add_u32_e32 v11, 20, v17
	v_or_b32_e32 v14, 0x800000, v5
	v_lshlrev_b64 v[11:12], v11, -1
	v_cndmask_b32_e32 v5, v14, v5, vcc
	v_bfi_b32 v14, v11, 0, v5
	v_add_u32_e32 v11, 19, v17
	v_bfi_b32 v15, v12, 0, 0
	v_lshlrev_b64 v[21:22], v11, 1
	v_lshrrev_b64 v[11:12], v17, v[5:6]
	v_cmp_eq_u64_e64 s[0:1], v[14:15], v[21:22]
	v_mov_b32_e32 v15, v12
	v_mov_b32_e32 v14, v11
	s_and_saveexec_b64 s[16:17], s[0:1]
; %bb.1264:                             ;   in Loop: Header=BB18_1260 Depth=1
	v_bfe_u32 v5, v11, 20, 1
	v_add_co_u32_e64 v5, s[0:1], v11, v5
	v_add_co_u32_e64 v14, s[0:1], -1, v5
; %bb.1265:                             ;   in Loop: Header=BB18_1260 Depth=1
	s_or_b64 exec, exec, s[16:17]
	v_add_u32_e32 v5, 0xffffff81, v16
	v_cndmask_b32_e32 v5, v5, v20, vcc
	v_lshrrev_b32_e32 v12, 23, v11
	v_add3_u32 v17, v17, v5, v12
	v_add_u32_e32 v15, 6, v17
	v_and_b32_e32 v5, 0xfffff, v14
	v_add_u32_e32 v5, v5, v11
	v_cmp_ne_u32_e32 vcc, 0, v15
                                        ; implicit-def: $vgpr11_vgpr12
                                        ; implicit-def: $vgpr16
	s_and_saveexec_b64 s[0:1], vcc
	s_xor_b64 s[0:1], exec, s[0:1]
; %bb.1266:                             ;   in Loop: Header=BB18_1260 Depth=1
	v_cmp_lt_u64_e32 vcc, s[8:9], v[5:6]
	v_add_u32_e32 v11, 7, v17
	v_cndmask_b32_e32 v16, v15, v11, vcc
	v_cndmask_b32_e64 v11, 0, 1, vcc
	v_lshrrev_b64 v[11:12], v11, v[5:6]
; %bb.1267:                             ;   in Loop: Header=BB18_1260 Depth=1
	s_andn2_saveexec_b64 s[0:1], s[0:1]
; %bb.1268:                             ;   in Loop: Header=BB18_1260 Depth=1
	v_mov_b32_e32 v12, v6
	v_bfe_u32 v16, v5, 23, 1
	v_mov_b32_e32 v11, v5
; %bb.1269:                             ;   in Loop: Header=BB18_1260 Depth=1
	s_or_b64 exec, exec, s[0:1]
	v_lshrrev_b64 v[11:12], 20, v[11:12]
	v_cmp_gt_i32_e32 vcc, 16, v16
	v_cndmask_b32_e32 v15, 0, v12, vcc
	v_cndmask_b32_e32 v14, 7, v11, vcc
	v_cmp_ne_u64_e32 vcc, 0, v[14:15]
	v_cmp_ne_u32_e64 s[0:1], 0, v16
	s_or_b64 s[0:1], s[0:1], vcc
	v_mov_b32_e32 v11, v13
	v_mov_b32_e32 v12, v14
	s_and_saveexec_b64 s[16:17], s[0:1]
	s_xor_b64 s[0:1], exec, s[16:17]
; %bb.1270:                             ;   in Loop: Header=BB18_1260 Depth=1
	v_min_i32_e32 v5, 15, v16
	v_lshl_or_b32 v5, v5, 3, v13
	v_and_or_b32 v11, v14, 7, v5
; %bb.1271:                             ;   in Loop: Header=BB18_1260 Depth=1
	s_andn2_saveexec_b64 s[0:1], s[0:1]
	s_or_b64 exec, exec, s[0:1]
.LBB18_1272:                            ;   in Loop: Header=BB18_1260 Depth=1
	s_or_b64 exec, exec, s[14:15]
                                        ; implicit-def: $vgpr13
.LBB18_1273:                            ;   in Loop: Header=BB18_1260 Depth=1
	s_andn2_saveexec_b64 s[0:1], s[12:13]
; %bb.1274:                             ;   in Loop: Header=BB18_1260 Depth=1
	v_or_b32_e32 v11, 0x7e, v13
; %bb.1275:                             ;   in Loop: Header=BB18_1260 Depth=1
	s_or_b64 exec, exec, s[0:1]
                                        ; implicit-def: $vgpr14
.LBB18_1276:                            ;   in Loop: Header=BB18_1260 Depth=1
	s_andn2_saveexec_b64 s[0:1], s[10:11]
; %bb.1277:                             ;   in Loop: Header=BB18_1260 Depth=1
	v_or_b32_sdwa v11, v14, s23 dst_sel:DWORD dst_unused:UNUSED_PAD src0_sel:BYTE_3 src1_sel:DWORD
; %bb.1278:                             ;   in Loop: Header=BB18_1260 Depth=1
	s_or_b64 exec, exec, s[0:1]
	v_cvt_f32_f16_sdwa v1, v1 dst_sel:DWORD dst_unused:UNUSED_PAD src0_sel:WORD_1
	v_div_scale_f32 v5, s[0:1], s33, s33, v1
	v_div_scale_f32 v12, vcc, v1, s33, v1
	v_rcp_f32_e32 v13, v5
	v_fma_f32 v14, -v5, v13, 1.0
	v_fmac_f32_e32 v13, v14, v13
	v_mul_f32_e32 v14, v12, v13
	v_fma_f32 v15, -v5, v14, v12
	v_fmac_f32_e32 v14, v15, v13
	v_fma_f32 v5, -v5, v14, v12
	v_div_fmas_f32 v5, v5, v13, v14
                                        ; implicit-def: $vgpr12_vgpr13
	v_div_fixup_f32 v1, v5, s33, v1
	v_cvt_f16_f32_e32 v1, v1
	v_cvt_f32_f16_e32 v14, v1
	v_and_b32_e32 v5, 0x7f800000, v14
	v_cmp_ne_u64_e32 vcc, s[4:5], v[5:6]
	s_and_saveexec_b64 s[0:1], vcc
	s_xor_b64 s[10:11], exec, s[0:1]
	s_cbranch_execz .LBB18_1294
; %bb.1279:                             ;   in Loop: Header=BB18_1260 Depth=1
	v_and_b32_e32 v5, 0x7fffffff, v14
	v_cmp_gt_u64_e32 vcc, s[6:7], v[5:6]
	v_and_b32_sdwa v1, v14, s21 dst_sel:DWORD dst_unused:UNUSED_PAD src0_sel:BYTE_3 src1_sel:DWORD
                                        ; implicit-def: $vgpr12_vgpr13
	s_and_saveexec_b64 s[0:1], vcc
	s_xor_b64 s[12:13], exec, s[0:1]
	s_cbranch_execz .LBB18_1291
; %bb.1280:                             ;   in Loop: Header=BB18_1260 Depth=1
	v_mov_b32_e32 v12, 0
	v_cmp_ne_u32_e32 vcc, 0, v14
	v_mov_b32_e32 v13, 0
	s_and_saveexec_b64 s[14:15], vcc
	s_cbranch_execz .LBB18_1290
; %bb.1281:                             ;   in Loop: Header=BB18_1260 Depth=1
	v_bfe_u32 v15, v14, 23, 8
	v_sub_u32_e32 v12, 0x79, v15
	v_cmp_gt_u32_e32 vcc, s22, v15
	v_cndmask_b32_e32 v12, 0, v12, vcc
	v_cmp_eq_u32_e32 vcc, 0, v15
	v_cndmask_b32_e32 v16, v12, v19, vcc
	v_and_b32_e32 v5, 0x7fffff, v14
	v_add_u32_e32 v12, 20, v16
	v_or_b32_e32 v14, 0x800000, v5
	v_lshlrev_b64 v[12:13], v12, -1
	v_cndmask_b32_e32 v5, v14, v5, vcc
	v_bfi_b32 v17, v12, 0, v5
	v_add_u32_e32 v12, 19, v16
	v_bfi_b32 v18, v13, 0, 0
	v_lshlrev_b64 v[21:22], v12, 1
	v_lshrrev_b64 v[12:13], v16, v[5:6]
	v_cmp_eq_u64_e64 s[0:1], v[17:18], v[21:22]
	v_mov_b32_e32 v14, v13
	v_mov_b32_e32 v13, v12
	s_and_saveexec_b64 s[16:17], s[0:1]
; %bb.1282:                             ;   in Loop: Header=BB18_1260 Depth=1
	v_bfe_u32 v5, v12, 20, 1
	v_add_co_u32_e64 v5, s[0:1], v12, v5
	v_add_co_u32_e64 v13, s[0:1], -1, v5
; %bb.1283:                             ;   in Loop: Header=BB18_1260 Depth=1
	s_or_b64 exec, exec, s[16:17]
	v_add_u32_e32 v5, 0xffffff81, v15
	v_cndmask_b32_e32 v5, v5, v20, vcc
	v_lshrrev_b32_e32 v14, 23, v12
	v_add3_u32 v15, v16, v5, v14
	v_add_u32_e32 v14, 6, v15
	v_and_b32_e32 v5, 0xfffff, v13
	v_add_u32_e32 v5, v5, v12
	v_cmp_ne_u32_e32 vcc, 0, v14
                                        ; implicit-def: $vgpr12_vgpr13
                                        ; implicit-def: $vgpr16
	s_and_saveexec_b64 s[0:1], vcc
	s_xor_b64 s[0:1], exec, s[0:1]
; %bb.1284:                             ;   in Loop: Header=BB18_1260 Depth=1
	v_cmp_lt_u64_e32 vcc, s[8:9], v[5:6]
	v_add_u32_e32 v12, 7, v15
	v_cndmask_b32_e32 v16, v14, v12, vcc
	v_cndmask_b32_e64 v12, 0, 1, vcc
	v_lshrrev_b64 v[12:13], v12, v[5:6]
; %bb.1285:                             ;   in Loop: Header=BB18_1260 Depth=1
	s_andn2_saveexec_b64 s[0:1], s[0:1]
; %bb.1286:                             ;   in Loop: Header=BB18_1260 Depth=1
	v_mov_b32_e32 v13, v6
	v_bfe_u32 v16, v5, 23, 1
	v_mov_b32_e32 v12, v5
; %bb.1287:                             ;   in Loop: Header=BB18_1260 Depth=1
	s_or_b64 exec, exec, s[0:1]
	v_lshrrev_b64 v[12:13], 20, v[12:13]
	v_cmp_gt_i32_e32 vcc, 16, v16
	v_cndmask_b32_e32 v15, 0, v13, vcc
	v_cndmask_b32_e32 v14, 7, v12, vcc
	v_cmp_ne_u64_e32 vcc, 0, v[14:15]
	v_cmp_ne_u32_e64 s[0:1], 0, v16
	v_mov_b32_e32 v13, v2
	s_or_b64 s[0:1], s[0:1], vcc
	v_mov_b32_e32 v12, v1
	s_and_saveexec_b64 s[16:17], s[0:1]
	s_xor_b64 s[0:1], exec, s[16:17]
; %bb.1288:                             ;   in Loop: Header=BB18_1260 Depth=1
	v_min_i32_e32 v5, 15, v16
	v_lshl_or_b32 v1, v5, 3, v1
	v_and_or_b32 v12, v14, 7, v1
; %bb.1289:                             ;   in Loop: Header=BB18_1260 Depth=1
	s_andn2_saveexec_b64 s[0:1], s[0:1]
	s_or_b64 exec, exec, s[0:1]
.LBB18_1290:                            ;   in Loop: Header=BB18_1260 Depth=1
	s_or_b64 exec, exec, s[14:15]
                                        ; implicit-def: $vgpr1
.LBB18_1291:                            ;   in Loop: Header=BB18_1260 Depth=1
	s_andn2_saveexec_b64 s[0:1], s[12:13]
; %bb.1292:                             ;   in Loop: Header=BB18_1260 Depth=1
	v_or_b32_e32 v12, 0x7e, v1
; %bb.1293:                             ;   in Loop: Header=BB18_1260 Depth=1
	s_or_b64 exec, exec, s[0:1]
                                        ; implicit-def: $vgpr14
.LBB18_1294:                            ;   in Loop: Header=BB18_1260 Depth=1
	s_andn2_saveexec_b64 s[0:1], s[10:11]
; %bb.1295:                             ;   in Loop: Header=BB18_1260 Depth=1
	v_or_b32_sdwa v12, v14, s23 dst_sel:DWORD dst_unused:UNUSED_PAD src0_sel:BYTE_3 src1_sel:DWORD
; %bb.1296:                             ;   in Loop: Header=BB18_1260 Depth=1
	s_or_b64 exec, exec, s[0:1]
	v_cvt_f32_f16_e32 v1, v2
	v_div_scale_f32 v5, s[0:1], s33, s33, v1
	v_div_scale_f32 v13, vcc, v1, s33, v1
	v_rcp_f32_e32 v14, v5
	v_fma_f32 v15, -v5, v14, 1.0
	v_fmac_f32_e32 v14, v15, v14
	v_mul_f32_e32 v15, v13, v14
	v_fma_f32 v16, -v5, v15, v13
	v_fmac_f32_e32 v15, v16, v14
	v_fma_f32 v5, -v5, v15, v13
	v_div_fmas_f32 v5, v5, v14, v15
                                        ; implicit-def: $vgpr13_vgpr14
	v_div_fixup_f32 v1, v5, s33, v1
	v_cvt_f16_f32_e32 v1, v1
	v_cvt_f32_f16_e32 v15, v1
	v_and_b32_e32 v5, 0x7f800000, v15
	v_cmp_ne_u64_e32 vcc, s[4:5], v[5:6]
	s_and_saveexec_b64 s[0:1], vcc
	s_xor_b64 s[10:11], exec, s[0:1]
	s_cbranch_execz .LBB18_1312
; %bb.1297:                             ;   in Loop: Header=BB18_1260 Depth=1
	v_and_b32_e32 v5, 0x7fffffff, v15
	v_cmp_gt_u64_e32 vcc, s[6:7], v[5:6]
	v_and_b32_sdwa v1, v15, s21 dst_sel:DWORD dst_unused:UNUSED_PAD src0_sel:BYTE_3 src1_sel:DWORD
                                        ; implicit-def: $vgpr13_vgpr14
	s_and_saveexec_b64 s[0:1], vcc
	s_xor_b64 s[12:13], exec, s[0:1]
	s_cbranch_execz .LBB18_1309
; %bb.1298:                             ;   in Loop: Header=BB18_1260 Depth=1
	v_mov_b32_e32 v13, 0
	v_cmp_ne_u32_e32 vcc, 0, v15
	v_mov_b32_e32 v14, 0
	s_and_saveexec_b64 s[14:15], vcc
	s_cbranch_execz .LBB18_1308
; %bb.1299:                             ;   in Loop: Header=BB18_1260 Depth=1
	v_bfe_u32 v16, v15, 23, 8
	v_sub_u32_e32 v13, 0x79, v16
	v_cmp_gt_u32_e32 vcc, s22, v16
	v_cndmask_b32_e32 v13, 0, v13, vcc
	v_cmp_eq_u32_e32 vcc, 0, v16
	v_cndmask_b32_e32 v17, v13, v19, vcc
	v_and_b32_e32 v5, 0x7fffff, v15
	v_add_u32_e32 v13, 20, v17
	v_or_b32_e32 v15, 0x800000, v5
	v_lshlrev_b64 v[13:14], v13, -1
	v_cndmask_b32_e32 v5, v15, v5, vcc
	v_bfi_b32 v21, v13, 0, v5
	v_add_u32_e32 v13, 19, v17
	v_bfi_b32 v22, v14, 0, 0
	v_lshlrev_b64 v[23:24], v13, 1
	v_lshrrev_b64 v[13:14], v17, v[5:6]
	v_cmp_eq_u64_e64 s[0:1], v[21:22], v[23:24]
	v_mov_b32_e32 v15, v14
	v_mov_b32_e32 v14, v13
	s_and_saveexec_b64 s[16:17], s[0:1]
; %bb.1300:                             ;   in Loop: Header=BB18_1260 Depth=1
	v_bfe_u32 v5, v13, 20, 1
	v_add_co_u32_e64 v5, s[0:1], v13, v5
	v_add_co_u32_e64 v14, s[0:1], -1, v5
; %bb.1301:                             ;   in Loop: Header=BB18_1260 Depth=1
	s_or_b64 exec, exec, s[16:17]
	v_add_u32_e32 v5, 0xffffff81, v16
	v_cndmask_b32_e32 v5, v5, v20, vcc
	v_lshrrev_b32_e32 v15, 23, v13
	v_add3_u32 v16, v17, v5, v15
	v_add_u32_e32 v15, 6, v16
	v_and_b32_e32 v5, 0xfffff, v14
	v_add_u32_e32 v5, v5, v13
	v_cmp_ne_u32_e32 vcc, 0, v15
                                        ; implicit-def: $vgpr13_vgpr14
                                        ; implicit-def: $vgpr17
	s_and_saveexec_b64 s[0:1], vcc
	s_xor_b64 s[0:1], exec, s[0:1]
; %bb.1302:                             ;   in Loop: Header=BB18_1260 Depth=1
	v_cmp_lt_u64_e32 vcc, s[8:9], v[5:6]
	v_add_u32_e32 v13, 7, v16
	v_cndmask_b32_e32 v17, v15, v13, vcc
	v_cndmask_b32_e64 v13, 0, 1, vcc
	v_lshrrev_b64 v[13:14], v13, v[5:6]
; %bb.1303:                             ;   in Loop: Header=BB18_1260 Depth=1
	s_andn2_saveexec_b64 s[0:1], s[0:1]
; %bb.1304:                             ;   in Loop: Header=BB18_1260 Depth=1
	v_mov_b32_e32 v14, v6
	v_bfe_u32 v17, v5, 23, 1
	v_mov_b32_e32 v13, v5
; %bb.1305:                             ;   in Loop: Header=BB18_1260 Depth=1
	s_or_b64 exec, exec, s[0:1]
	v_lshrrev_b64 v[13:14], 20, v[13:14]
	v_cmp_gt_i32_e32 vcc, 16, v17
	v_cndmask_b32_e32 v16, 0, v14, vcc
	v_cndmask_b32_e32 v15, 7, v13, vcc
	v_cmp_ne_u64_e32 vcc, 0, v[15:16]
	v_cmp_ne_u32_e64 s[0:1], 0, v17
	v_mov_b32_e32 v14, v2
	s_or_b64 s[0:1], s[0:1], vcc
	v_mov_b32_e32 v13, v1
	s_and_saveexec_b64 s[16:17], s[0:1]
	s_xor_b64 s[0:1], exec, s[16:17]
; %bb.1306:                             ;   in Loop: Header=BB18_1260 Depth=1
	v_min_i32_e32 v5, 15, v17
	v_lshl_or_b32 v1, v5, 3, v1
	v_and_or_b32 v13, v15, 7, v1
; %bb.1307:                             ;   in Loop: Header=BB18_1260 Depth=1
	s_andn2_saveexec_b64 s[0:1], s[0:1]
	s_or_b64 exec, exec, s[0:1]
.LBB18_1308:                            ;   in Loop: Header=BB18_1260 Depth=1
	s_or_b64 exec, exec, s[14:15]
                                        ; implicit-def: $vgpr1
.LBB18_1309:                            ;   in Loop: Header=BB18_1260 Depth=1
	s_andn2_saveexec_b64 s[0:1], s[12:13]
; %bb.1310:                             ;   in Loop: Header=BB18_1260 Depth=1
	v_or_b32_e32 v13, 0x7e, v1
; %bb.1311:                             ;   in Loop: Header=BB18_1260 Depth=1
	s_or_b64 exec, exec, s[0:1]
                                        ; implicit-def: $vgpr15
.LBB18_1312:                            ;   in Loop: Header=BB18_1260 Depth=1
	s_andn2_saveexec_b64 s[0:1], s[10:11]
; %bb.1313:                             ;   in Loop: Header=BB18_1260 Depth=1
	v_or_b32_sdwa v13, v15, s23 dst_sel:DWORD dst_unused:UNUSED_PAD src0_sel:BYTE_3 src1_sel:DWORD
; %bb.1314:                             ;   in Loop: Header=BB18_1260 Depth=1
	s_or_b64 exec, exec, s[0:1]
	v_cvt_f32_f16_sdwa v1, v2 dst_sel:DWORD dst_unused:UNUSED_PAD src0_sel:WORD_1
	v_div_scale_f32 v2, s[0:1], s33, s33, v1
	v_div_scale_f32 v5, vcc, v1, s33, v1
	v_rcp_f32_e32 v14, v2
	v_fma_f32 v15, -v2, v14, 1.0
	v_fmac_f32_e32 v14, v15, v14
	v_mul_f32_e32 v15, v5, v14
	v_fma_f32 v16, -v2, v15, v5
	v_fmac_f32_e32 v15, v16, v14
	v_fma_f32 v2, -v2, v15, v5
	v_div_fmas_f32 v2, v2, v14, v15
	v_div_fixup_f32 v1, v2, s33, v1
	v_cvt_f16_f32_e32 v1, v1
	v_cvt_f32_f16_e32 v15, v1
                                        ; implicit-def: $vgpr1_vgpr2
	v_and_b32_e32 v5, 0x7f800000, v15
	v_cmp_ne_u64_e32 vcc, s[4:5], v[5:6]
	s_and_saveexec_b64 s[0:1], vcc
	s_xor_b64 s[10:11], exec, s[0:1]
	s_cbranch_execz .LBB18_1330
; %bb.1315:                             ;   in Loop: Header=BB18_1260 Depth=1
	v_and_b32_e32 v5, 0x7fffffff, v15
	v_cmp_gt_u64_e32 vcc, s[6:7], v[5:6]
	v_and_b32_sdwa v14, v15, s21 dst_sel:DWORD dst_unused:UNUSED_PAD src0_sel:BYTE_3 src1_sel:DWORD
                                        ; implicit-def: $vgpr1_vgpr2
	s_and_saveexec_b64 s[0:1], vcc
	s_xor_b64 s[12:13], exec, s[0:1]
	s_cbranch_execz .LBB18_1327
; %bb.1316:                             ;   in Loop: Header=BB18_1260 Depth=1
	v_mov_b32_e32 v1, 0
	v_cmp_ne_u32_e32 vcc, 0, v15
	v_mov_b32_e32 v2, 0
	s_and_saveexec_b64 s[14:15], vcc
	s_cbranch_execz .LBB18_1326
; %bb.1317:                             ;   in Loop: Header=BB18_1260 Depth=1
	v_bfe_u32 v17, v15, 23, 8
	v_sub_u32_e32 v1, 0x79, v17
	v_cmp_gt_u32_e32 vcc, s22, v17
	v_cndmask_b32_e32 v1, 0, v1, vcc
	v_cmp_eq_u32_e32 vcc, 0, v17
	v_cndmask_b32_e32 v18, v1, v19, vcc
	v_and_b32_e32 v5, 0x7fffff, v15
	v_add_u32_e32 v1, 20, v18
	v_or_b32_e32 v15, 0x800000, v5
	v_lshlrev_b64 v[1:2], v1, -1
	v_cndmask_b32_e32 v5, v15, v5, vcc
	v_bfi_b32 v15, v1, 0, v5
	v_add_u32_e32 v1, 19, v18
	v_bfi_b32 v16, v2, 0, 0
	v_lshlrev_b64 v[21:22], v1, 1
	v_lshrrev_b64 v[1:2], v18, v[5:6]
	v_cmp_eq_u64_e64 s[0:1], v[15:16], v[21:22]
	v_mov_b32_e32 v16, v2
	v_mov_b32_e32 v15, v1
	s_and_saveexec_b64 s[16:17], s[0:1]
; %bb.1318:                             ;   in Loop: Header=BB18_1260 Depth=1
	v_bfe_u32 v2, v1, 20, 1
	v_add_co_u32_e64 v2, s[0:1], v1, v2
	v_add_co_u32_e64 v15, s[0:1], -1, v2
; %bb.1319:                             ;   in Loop: Header=BB18_1260 Depth=1
	s_or_b64 exec, exec, s[16:17]
	v_add_u32_e32 v2, 0xffffff81, v17
	v_cndmask_b32_e32 v2, v2, v20, vcc
	v_lshrrev_b32_e32 v5, 23, v1
	v_add3_u32 v18, v18, v2, v5
	v_add_u32_e32 v16, 6, v18
	v_and_b32_e32 v2, 0xfffff, v15
	v_add_u32_e32 v5, v2, v1
	v_cmp_ne_u32_e32 vcc, 0, v16
                                        ; implicit-def: $vgpr1_vgpr2
                                        ; implicit-def: $vgpr17
	s_and_saveexec_b64 s[0:1], vcc
	s_xor_b64 s[0:1], exec, s[0:1]
; %bb.1320:                             ;   in Loop: Header=BB18_1260 Depth=1
	v_cmp_lt_u64_e32 vcc, s[8:9], v[5:6]
	v_add_u32_e32 v1, 7, v18
	v_cndmask_b32_e32 v17, v16, v1, vcc
	v_cndmask_b32_e64 v1, 0, 1, vcc
	v_lshrrev_b64 v[1:2], v1, v[5:6]
; %bb.1321:                             ;   in Loop: Header=BB18_1260 Depth=1
	s_andn2_saveexec_b64 s[0:1], s[0:1]
; %bb.1322:                             ;   in Loop: Header=BB18_1260 Depth=1
	v_mov_b32_e32 v1, v5
	v_bfe_u32 v17, v5, 23, 1
	v_mov_b32_e32 v2, v6
; %bb.1323:                             ;   in Loop: Header=BB18_1260 Depth=1
	s_or_b64 exec, exec, s[0:1]
	v_lshrrev_b64 v[1:2], 20, v[1:2]
	v_cmp_gt_i32_e32 vcc, 16, v17
	v_cndmask_b32_e32 v16, 0, v2, vcc
	v_cndmask_b32_e32 v15, 7, v1, vcc
	v_cmp_ne_u64_e32 vcc, 0, v[15:16]
	v_cmp_ne_u32_e64 s[0:1], 0, v17
	s_or_b64 s[0:1], s[0:1], vcc
	v_mov_b32_e32 v1, v14
	v_mov_b32_e32 v2, v15
	s_and_saveexec_b64 s[16:17], s[0:1]
	s_xor_b64 s[0:1], exec, s[16:17]
; %bb.1324:                             ;   in Loop: Header=BB18_1260 Depth=1
	v_min_i32_e32 v1, 15, v17
	v_lshl_or_b32 v1, v1, 3, v14
	v_and_or_b32 v1, v15, 7, v1
; %bb.1325:                             ;   in Loop: Header=BB18_1260 Depth=1
	s_andn2_saveexec_b64 s[0:1], s[0:1]
	s_or_b64 exec, exec, s[0:1]
.LBB18_1326:                            ;   in Loop: Header=BB18_1260 Depth=1
	s_or_b64 exec, exec, s[14:15]
                                        ; implicit-def: $vgpr14
.LBB18_1327:                            ;   in Loop: Header=BB18_1260 Depth=1
	s_andn2_saveexec_b64 s[0:1], s[12:13]
; %bb.1328:                             ;   in Loop: Header=BB18_1260 Depth=1
	v_or_b32_e32 v1, 0x7e, v14
; %bb.1329:                             ;   in Loop: Header=BB18_1260 Depth=1
	s_or_b64 exec, exec, s[0:1]
                                        ; implicit-def: $vgpr15
.LBB18_1330:                            ;   in Loop: Header=BB18_1260 Depth=1
	s_andn2_saveexec_b64 s[0:1], s[10:11]
; %bb.1331:                             ;   in Loop: Header=BB18_1260 Depth=1
	v_or_b32_sdwa v1, v15, s23 dst_sel:DWORD dst_unused:UNUSED_PAD src0_sel:BYTE_3 src1_sel:DWORD
; %bb.1332:                             ;   in Loop: Header=BB18_1260 Depth=1
	s_or_b64 exec, exec, s[0:1]
	v_cvt_f32_f16_e32 v2, v3
	v_div_scale_f32 v5, s[0:1], s33, s33, v2
	v_div_scale_f32 v14, vcc, v2, s33, v2
	v_rcp_f32_e32 v15, v5
	v_fma_f32 v16, -v5, v15, 1.0
	v_fmac_f32_e32 v15, v16, v15
	v_mul_f32_e32 v16, v14, v15
	v_fma_f32 v17, -v5, v16, v14
	v_fmac_f32_e32 v16, v17, v15
	v_fma_f32 v5, -v5, v16, v14
	v_div_fmas_f32 v5, v5, v15, v16
                                        ; implicit-def: $vgpr14_vgpr15
	v_div_fixup_f32 v2, v5, s33, v2
	v_cvt_f16_f32_e32 v2, v2
	v_cvt_f32_f16_e32 v16, v2
	v_and_b32_e32 v5, 0x7f800000, v16
	v_cmp_ne_u64_e32 vcc, s[4:5], v[5:6]
	s_and_saveexec_b64 s[0:1], vcc
	s_xor_b64 s[10:11], exec, s[0:1]
	s_cbranch_execz .LBB18_1348
; %bb.1333:                             ;   in Loop: Header=BB18_1260 Depth=1
	v_and_b32_e32 v5, 0x7fffffff, v16
	v_cmp_gt_u64_e32 vcc, s[6:7], v[5:6]
	v_and_b32_sdwa v2, v16, s21 dst_sel:DWORD dst_unused:UNUSED_PAD src0_sel:BYTE_3 src1_sel:DWORD
                                        ; implicit-def: $vgpr14_vgpr15
	s_and_saveexec_b64 s[0:1], vcc
	s_xor_b64 s[12:13], exec, s[0:1]
	s_cbranch_execz .LBB18_1345
; %bb.1334:                             ;   in Loop: Header=BB18_1260 Depth=1
	v_mov_b32_e32 v14, 0
	v_cmp_ne_u32_e32 vcc, 0, v16
	v_mov_b32_e32 v15, 0
	s_and_saveexec_b64 s[14:15], vcc
	s_cbranch_execz .LBB18_1344
; %bb.1335:                             ;   in Loop: Header=BB18_1260 Depth=1
	v_bfe_u32 v17, v16, 23, 8
	v_sub_u32_e32 v14, 0x79, v17
	v_cmp_gt_u32_e32 vcc, s22, v17
	v_cndmask_b32_e32 v14, 0, v14, vcc
	v_cmp_eq_u32_e32 vcc, 0, v17
	v_cndmask_b32_e32 v18, v14, v19, vcc
	v_and_b32_e32 v5, 0x7fffff, v16
	v_add_u32_e32 v14, 20, v18
	v_or_b32_e32 v16, 0x800000, v5
	v_lshlrev_b64 v[14:15], v14, -1
	v_cndmask_b32_e32 v5, v16, v5, vcc
	v_bfi_b32 v21, v14, 0, v5
	v_add_u32_e32 v14, 19, v18
	v_bfi_b32 v22, v15, 0, 0
	v_lshlrev_b64 v[23:24], v14, 1
	v_lshrrev_b64 v[14:15], v18, v[5:6]
	v_cmp_eq_u64_e64 s[0:1], v[21:22], v[23:24]
	v_mov_b32_e32 v16, v15
	v_mov_b32_e32 v15, v14
	s_and_saveexec_b64 s[16:17], s[0:1]
; %bb.1336:                             ;   in Loop: Header=BB18_1260 Depth=1
	v_bfe_u32 v5, v14, 20, 1
	v_add_co_u32_e64 v5, s[0:1], v14, v5
	v_add_co_u32_e64 v15, s[0:1], -1, v5
; %bb.1337:                             ;   in Loop: Header=BB18_1260 Depth=1
	s_or_b64 exec, exec, s[16:17]
	v_add_u32_e32 v5, 0xffffff81, v17
	v_cndmask_b32_e32 v5, v5, v20, vcc
	v_lshrrev_b32_e32 v16, 23, v14
	v_add3_u32 v17, v18, v5, v16
	v_add_u32_e32 v16, 6, v17
	v_and_b32_e32 v5, 0xfffff, v15
	v_add_u32_e32 v5, v5, v14
	v_cmp_ne_u32_e32 vcc, 0, v16
                                        ; implicit-def: $vgpr14_vgpr15
                                        ; implicit-def: $vgpr18
	s_and_saveexec_b64 s[0:1], vcc
	s_xor_b64 s[0:1], exec, s[0:1]
; %bb.1338:                             ;   in Loop: Header=BB18_1260 Depth=1
	v_cmp_lt_u64_e32 vcc, s[8:9], v[5:6]
	v_add_u32_e32 v14, 7, v17
	v_cndmask_b32_e32 v18, v16, v14, vcc
	v_cndmask_b32_e64 v14, 0, 1, vcc
	v_lshrrev_b64 v[14:15], v14, v[5:6]
; %bb.1339:                             ;   in Loop: Header=BB18_1260 Depth=1
	s_andn2_saveexec_b64 s[0:1], s[0:1]
; %bb.1340:                             ;   in Loop: Header=BB18_1260 Depth=1
	v_mov_b32_e32 v15, v6
	v_bfe_u32 v18, v5, 23, 1
	v_mov_b32_e32 v14, v5
; %bb.1341:                             ;   in Loop: Header=BB18_1260 Depth=1
	s_or_b64 exec, exec, s[0:1]
	v_lshrrev_b64 v[14:15], 20, v[14:15]
	v_cmp_gt_i32_e32 vcc, 16, v18
	v_cndmask_b32_e32 v17, 0, v15, vcc
	v_cndmask_b32_e32 v16, 7, v14, vcc
	v_cmp_ne_u64_e32 vcc, 0, v[16:17]
	v_cmp_ne_u32_e64 s[0:1], 0, v18
	v_mov_b32_e32 v15, v3
	s_or_b64 s[0:1], s[0:1], vcc
	v_mov_b32_e32 v14, v2
	s_and_saveexec_b64 s[16:17], s[0:1]
	s_xor_b64 s[0:1], exec, s[16:17]
; %bb.1342:                             ;   in Loop: Header=BB18_1260 Depth=1
	v_min_i32_e32 v5, 15, v18
	v_lshl_or_b32 v2, v5, 3, v2
	v_and_or_b32 v14, v16, 7, v2
; %bb.1343:                             ;   in Loop: Header=BB18_1260 Depth=1
	s_andn2_saveexec_b64 s[0:1], s[0:1]
	s_or_b64 exec, exec, s[0:1]
.LBB18_1344:                            ;   in Loop: Header=BB18_1260 Depth=1
	s_or_b64 exec, exec, s[14:15]
                                        ; implicit-def: $vgpr2
.LBB18_1345:                            ;   in Loop: Header=BB18_1260 Depth=1
	s_andn2_saveexec_b64 s[0:1], s[12:13]
; %bb.1346:                             ;   in Loop: Header=BB18_1260 Depth=1
	v_or_b32_e32 v14, 0x7e, v2
; %bb.1347:                             ;   in Loop: Header=BB18_1260 Depth=1
	s_or_b64 exec, exec, s[0:1]
                                        ; implicit-def: $vgpr16
.LBB18_1348:                            ;   in Loop: Header=BB18_1260 Depth=1
	s_andn2_saveexec_b64 s[0:1], s[10:11]
; %bb.1349:                             ;   in Loop: Header=BB18_1260 Depth=1
	v_or_b32_sdwa v14, v16, s23 dst_sel:DWORD dst_unused:UNUSED_PAD src0_sel:BYTE_3 src1_sel:DWORD
; %bb.1350:                             ;   in Loop: Header=BB18_1260 Depth=1
	s_or_b64 exec, exec, s[0:1]
	v_cvt_f32_f16_sdwa v2, v3 dst_sel:DWORD dst_unused:UNUSED_PAD src0_sel:WORD_1
	v_div_scale_f32 v3, s[0:1], s33, s33, v2
	v_div_scale_f32 v5, vcc, v2, s33, v2
	v_rcp_f32_e32 v15, v3
	v_fma_f32 v16, -v3, v15, 1.0
	v_fmac_f32_e32 v15, v16, v15
	v_mul_f32_e32 v16, v5, v15
	v_fma_f32 v17, -v3, v16, v5
	v_fmac_f32_e32 v16, v17, v15
	v_fma_f32 v3, -v3, v16, v5
	v_div_fmas_f32 v3, v3, v15, v16
	v_div_fixup_f32 v2, v3, s33, v2
	v_cvt_f16_f32_e32 v2, v2
	v_cvt_f32_f16_e32 v16, v2
                                        ; implicit-def: $vgpr2_vgpr3
	v_and_b32_e32 v5, 0x7f800000, v16
	v_cmp_ne_u64_e32 vcc, s[4:5], v[5:6]
	s_and_saveexec_b64 s[0:1], vcc
	s_xor_b64 s[10:11], exec, s[0:1]
	s_cbranch_execz .LBB18_1366
; %bb.1351:                             ;   in Loop: Header=BB18_1260 Depth=1
	v_and_b32_e32 v5, 0x7fffffff, v16
	v_cmp_gt_u64_e32 vcc, s[6:7], v[5:6]
	v_and_b32_sdwa v15, v16, s21 dst_sel:DWORD dst_unused:UNUSED_PAD src0_sel:BYTE_3 src1_sel:DWORD
                                        ; implicit-def: $vgpr2_vgpr3
	s_and_saveexec_b64 s[0:1], vcc
	s_xor_b64 s[12:13], exec, s[0:1]
	s_cbranch_execz .LBB18_1363
; %bb.1352:                             ;   in Loop: Header=BB18_1260 Depth=1
	v_mov_b32_e32 v2, 0
	v_cmp_ne_u32_e32 vcc, 0, v16
	v_mov_b32_e32 v3, 0
	s_and_saveexec_b64 s[14:15], vcc
	s_cbranch_execz .LBB18_1362
; %bb.1353:                             ;   in Loop: Header=BB18_1260 Depth=1
	v_bfe_u32 v18, v16, 23, 8
	v_sub_u32_e32 v2, 0x79, v18
	v_cmp_gt_u32_e32 vcc, s22, v18
	v_cndmask_b32_e32 v2, 0, v2, vcc
	v_cmp_eq_u32_e32 vcc, 0, v18
	v_cndmask_b32_e32 v21, v2, v19, vcc
	v_and_b32_e32 v5, 0x7fffff, v16
	v_add_u32_e32 v2, 20, v21
	v_or_b32_e32 v16, 0x800000, v5
	v_lshlrev_b64 v[2:3], v2, -1
	v_cndmask_b32_e32 v5, v16, v5, vcc
	v_bfi_b32 v16, v2, 0, v5
	v_add_u32_e32 v2, 19, v21
	v_bfi_b32 v17, v3, 0, 0
	v_lshlrev_b64 v[22:23], v2, 1
	v_lshrrev_b64 v[2:3], v21, v[5:6]
	v_cmp_eq_u64_e64 s[0:1], v[16:17], v[22:23]
	v_mov_b32_e32 v17, v3
	v_mov_b32_e32 v16, v2
	s_and_saveexec_b64 s[16:17], s[0:1]
; %bb.1354:                             ;   in Loop: Header=BB18_1260 Depth=1
	v_bfe_u32 v3, v2, 20, 1
	v_add_co_u32_e64 v3, s[0:1], v2, v3
	v_add_co_u32_e64 v16, s[0:1], -1, v3
; %bb.1355:                             ;   in Loop: Header=BB18_1260 Depth=1
	s_or_b64 exec, exec, s[16:17]
	v_add_u32_e32 v3, 0xffffff81, v18
	v_cndmask_b32_e32 v3, v3, v20, vcc
	v_lshrrev_b32_e32 v5, 23, v2
	v_add3_u32 v21, v21, v3, v5
	v_add_u32_e32 v17, 6, v21
	v_and_b32_e32 v3, 0xfffff, v16
	v_add_u32_e32 v5, v3, v2
	v_cmp_ne_u32_e32 vcc, 0, v17
                                        ; implicit-def: $vgpr2_vgpr3
                                        ; implicit-def: $vgpr18
	s_and_saveexec_b64 s[0:1], vcc
	s_xor_b64 s[0:1], exec, s[0:1]
; %bb.1356:                             ;   in Loop: Header=BB18_1260 Depth=1
	v_cmp_lt_u64_e32 vcc, s[8:9], v[5:6]
	v_add_u32_e32 v2, 7, v21
	v_cndmask_b32_e32 v18, v17, v2, vcc
	v_cndmask_b32_e64 v2, 0, 1, vcc
	v_lshrrev_b64 v[2:3], v2, v[5:6]
; %bb.1357:                             ;   in Loop: Header=BB18_1260 Depth=1
	s_andn2_saveexec_b64 s[0:1], s[0:1]
; %bb.1358:                             ;   in Loop: Header=BB18_1260 Depth=1
	v_mov_b32_e32 v2, v5
	v_bfe_u32 v18, v5, 23, 1
	v_mov_b32_e32 v3, v6
; %bb.1359:                             ;   in Loop: Header=BB18_1260 Depth=1
	s_or_b64 exec, exec, s[0:1]
	v_lshrrev_b64 v[2:3], 20, v[2:3]
	v_cmp_gt_i32_e32 vcc, 16, v18
	v_cndmask_b32_e32 v17, 0, v3, vcc
	v_cndmask_b32_e32 v16, 7, v2, vcc
	v_cmp_ne_u64_e32 vcc, 0, v[16:17]
	v_cmp_ne_u32_e64 s[0:1], 0, v18
	s_or_b64 s[0:1], s[0:1], vcc
	v_mov_b32_e32 v2, v15
	v_mov_b32_e32 v3, v16
	s_and_saveexec_b64 s[16:17], s[0:1]
	s_xor_b64 s[0:1], exec, s[16:17]
; %bb.1360:                             ;   in Loop: Header=BB18_1260 Depth=1
	v_min_i32_e32 v2, 15, v18
	v_lshl_or_b32 v2, v2, 3, v15
	v_and_or_b32 v2, v16, 7, v2
; %bb.1361:                             ;   in Loop: Header=BB18_1260 Depth=1
	s_andn2_saveexec_b64 s[0:1], s[0:1]
	s_or_b64 exec, exec, s[0:1]
.LBB18_1362:                            ;   in Loop: Header=BB18_1260 Depth=1
	s_or_b64 exec, exec, s[14:15]
                                        ; implicit-def: $vgpr15
.LBB18_1363:                            ;   in Loop: Header=BB18_1260 Depth=1
	s_andn2_saveexec_b64 s[0:1], s[12:13]
; %bb.1364:                             ;   in Loop: Header=BB18_1260 Depth=1
	v_or_b32_e32 v2, 0x7e, v15
; %bb.1365:                             ;   in Loop: Header=BB18_1260 Depth=1
	s_or_b64 exec, exec, s[0:1]
                                        ; implicit-def: $vgpr16
.LBB18_1366:                            ;   in Loop: Header=BB18_1260 Depth=1
	s_andn2_saveexec_b64 s[0:1], s[10:11]
; %bb.1367:                             ;   in Loop: Header=BB18_1260 Depth=1
	v_or_b32_sdwa v2, v16, s23 dst_sel:DWORD dst_unused:UNUSED_PAD src0_sel:BYTE_3 src1_sel:DWORD
; %bb.1368:                             ;   in Loop: Header=BB18_1260 Depth=1
	s_or_b64 exec, exec, s[0:1]
	v_cvt_f32_f16_e32 v3, v4
	v_div_scale_f32 v5, s[0:1], s33, s33, v3
	v_div_scale_f32 v15, vcc, v3, s33, v3
	v_rcp_f32_e32 v16, v5
	v_fma_f32 v17, -v5, v16, 1.0
	v_fmac_f32_e32 v16, v17, v16
	v_mul_f32_e32 v17, v15, v16
	v_fma_f32 v18, -v5, v17, v15
	v_fmac_f32_e32 v17, v18, v16
	v_fma_f32 v5, -v5, v17, v15
	v_div_fmas_f32 v5, v5, v16, v17
                                        ; implicit-def: $vgpr15_vgpr16
	v_div_fixup_f32 v3, v5, s33, v3
	v_cvt_f16_f32_e32 v3, v3
	v_cvt_f32_f16_e32 v17, v3
	v_and_b32_e32 v5, 0x7f800000, v17
	v_cmp_ne_u64_e32 vcc, s[4:5], v[5:6]
	s_and_saveexec_b64 s[0:1], vcc
	s_xor_b64 s[10:11], exec, s[0:1]
	s_cbranch_execz .LBB18_1384
; %bb.1369:                             ;   in Loop: Header=BB18_1260 Depth=1
	v_and_b32_e32 v5, 0x7fffffff, v17
	v_cmp_gt_u64_e32 vcc, s[6:7], v[5:6]
	v_and_b32_sdwa v3, v17, s21 dst_sel:DWORD dst_unused:UNUSED_PAD src0_sel:BYTE_3 src1_sel:DWORD
                                        ; implicit-def: $vgpr15_vgpr16
	s_and_saveexec_b64 s[0:1], vcc
	s_xor_b64 s[12:13], exec, s[0:1]
	s_cbranch_execz .LBB18_1381
; %bb.1370:                             ;   in Loop: Header=BB18_1260 Depth=1
	v_mov_b32_e32 v15, 0
	v_cmp_ne_u32_e32 vcc, 0, v17
	v_mov_b32_e32 v16, 0
	s_and_saveexec_b64 s[14:15], vcc
	s_cbranch_execz .LBB18_1380
; %bb.1371:                             ;   in Loop: Header=BB18_1260 Depth=1
	v_bfe_u32 v18, v17, 23, 8
	v_sub_u32_e32 v15, 0x79, v18
	v_cmp_gt_u32_e32 vcc, s22, v18
	v_cndmask_b32_e32 v15, 0, v15, vcc
	v_cmp_eq_u32_e32 vcc, 0, v18
	v_cndmask_b32_e32 v21, v15, v19, vcc
	v_and_b32_e32 v5, 0x7fffff, v17
	v_add_u32_e32 v15, 20, v21
	v_or_b32_e32 v17, 0x800000, v5
	v_lshlrev_b64 v[15:16], v15, -1
	v_cndmask_b32_e32 v5, v17, v5, vcc
	v_bfi_b32 v22, v15, 0, v5
	v_add_u32_e32 v15, 19, v21
	v_bfi_b32 v23, v16, 0, 0
	v_lshlrev_b64 v[24:25], v15, 1
	v_lshrrev_b64 v[15:16], v21, v[5:6]
	v_cmp_eq_u64_e64 s[0:1], v[22:23], v[24:25]
	v_mov_b32_e32 v17, v16
	v_mov_b32_e32 v16, v15
	s_and_saveexec_b64 s[16:17], s[0:1]
; %bb.1372:                             ;   in Loop: Header=BB18_1260 Depth=1
	v_bfe_u32 v5, v15, 20, 1
	v_add_co_u32_e64 v5, s[0:1], v15, v5
	v_add_co_u32_e64 v16, s[0:1], -1, v5
; %bb.1373:                             ;   in Loop: Header=BB18_1260 Depth=1
	s_or_b64 exec, exec, s[16:17]
	v_add_u32_e32 v5, 0xffffff81, v18
	v_cndmask_b32_e32 v5, v5, v20, vcc
	v_lshrrev_b32_e32 v17, 23, v15
	v_add3_u32 v18, v21, v5, v17
	v_add_u32_e32 v17, 6, v18
	v_and_b32_e32 v5, 0xfffff, v16
	v_add_u32_e32 v5, v5, v15
	v_cmp_ne_u32_e32 vcc, 0, v17
                                        ; implicit-def: $vgpr15_vgpr16
                                        ; implicit-def: $vgpr21
	s_and_saveexec_b64 s[0:1], vcc
	s_xor_b64 s[0:1], exec, s[0:1]
; %bb.1374:                             ;   in Loop: Header=BB18_1260 Depth=1
	v_cmp_lt_u64_e32 vcc, s[8:9], v[5:6]
	v_add_u32_e32 v15, 7, v18
	v_cndmask_b32_e32 v21, v17, v15, vcc
	v_cndmask_b32_e64 v15, 0, 1, vcc
	v_lshrrev_b64 v[15:16], v15, v[5:6]
; %bb.1375:                             ;   in Loop: Header=BB18_1260 Depth=1
	s_andn2_saveexec_b64 s[0:1], s[0:1]
; %bb.1376:                             ;   in Loop: Header=BB18_1260 Depth=1
	v_mov_b32_e32 v16, v6
	v_bfe_u32 v21, v5, 23, 1
	v_mov_b32_e32 v15, v5
; %bb.1377:                             ;   in Loop: Header=BB18_1260 Depth=1
	s_or_b64 exec, exec, s[0:1]
	v_lshrrev_b64 v[15:16], 20, v[15:16]
	v_cmp_gt_i32_e32 vcc, 16, v21
	v_cndmask_b32_e32 v18, 0, v16, vcc
	v_cndmask_b32_e32 v17, 7, v15, vcc
	v_cmp_ne_u64_e32 vcc, 0, v[17:18]
	v_cmp_ne_u32_e64 s[0:1], 0, v21
	v_mov_b32_e32 v16, v4
	s_or_b64 s[0:1], s[0:1], vcc
	v_mov_b32_e32 v15, v3
	s_and_saveexec_b64 s[16:17], s[0:1]
	s_xor_b64 s[0:1], exec, s[16:17]
; %bb.1378:                             ;   in Loop: Header=BB18_1260 Depth=1
	v_min_i32_e32 v5, 15, v21
	v_lshl_or_b32 v3, v5, 3, v3
	v_and_or_b32 v15, v17, 7, v3
; %bb.1379:                             ;   in Loop: Header=BB18_1260 Depth=1
	s_andn2_saveexec_b64 s[0:1], s[0:1]
	s_or_b64 exec, exec, s[0:1]
.LBB18_1380:                            ;   in Loop: Header=BB18_1260 Depth=1
	s_or_b64 exec, exec, s[14:15]
                                        ; implicit-def: $vgpr3
.LBB18_1381:                            ;   in Loop: Header=BB18_1260 Depth=1
	s_andn2_saveexec_b64 s[0:1], s[12:13]
; %bb.1382:                             ;   in Loop: Header=BB18_1260 Depth=1
	v_or_b32_e32 v15, 0x7e, v3
; %bb.1383:                             ;   in Loop: Header=BB18_1260 Depth=1
	s_or_b64 exec, exec, s[0:1]
                                        ; implicit-def: $vgpr17
.LBB18_1384:                            ;   in Loop: Header=BB18_1260 Depth=1
	s_andn2_saveexec_b64 s[0:1], s[10:11]
; %bb.1385:                             ;   in Loop: Header=BB18_1260 Depth=1
	v_or_b32_sdwa v15, v17, s23 dst_sel:DWORD dst_unused:UNUSED_PAD src0_sel:BYTE_3 src1_sel:DWORD
; %bb.1386:                             ;   in Loop: Header=BB18_1260 Depth=1
	s_or_b64 exec, exec, s[0:1]
	v_cvt_f32_f16_sdwa v3, v4 dst_sel:DWORD dst_unused:UNUSED_PAD src0_sel:WORD_1
	v_div_scale_f32 v4, s[0:1], s33, s33, v3
	v_div_scale_f32 v5, vcc, v3, s33, v3
	v_rcp_f32_e32 v16, v4
	v_fma_f32 v17, -v4, v16, 1.0
	v_fmac_f32_e32 v16, v17, v16
	v_mul_f32_e32 v17, v5, v16
	v_fma_f32 v18, -v4, v17, v5
	v_fmac_f32_e32 v17, v18, v16
	v_fma_f32 v4, -v4, v17, v5
	v_div_fmas_f32 v4, v4, v16, v17
	v_div_fixup_f32 v3, v4, s33, v3
	v_cvt_f16_f32_e32 v3, v3
	v_cvt_f32_f16_e32 v16, v3
	v_and_b32_e32 v5, 0x7f800000, v16
	v_cmp_ne_u64_e32 vcc, s[4:5], v[5:6]
                                        ; implicit-def: $vgpr4_vgpr5
	s_and_saveexec_b64 s[0:1], vcc
	s_xor_b64 s[10:11], exec, s[0:1]
	s_cbranch_execz .LBB18_1402
; %bb.1387:                             ;   in Loop: Header=BB18_1260 Depth=1
	v_and_b32_e32 v5, 0x7fffffff, v16
	v_cmp_gt_u64_e32 vcc, s[6:7], v[5:6]
	v_and_b32_sdwa v3, v16, s21 dst_sel:DWORD dst_unused:UNUSED_PAD src0_sel:BYTE_3 src1_sel:DWORD
                                        ; implicit-def: $vgpr4_vgpr5
	s_and_saveexec_b64 s[0:1], vcc
	s_xor_b64 s[12:13], exec, s[0:1]
	s_cbranch_execz .LBB18_1399
; %bb.1388:                             ;   in Loop: Header=BB18_1260 Depth=1
	v_mov_b32_e32 v4, 0
	v_cmp_ne_u32_e32 vcc, 0, v16
	v_mov_b32_e32 v5, 0
	s_and_saveexec_b64 s[14:15], vcc
	s_cbranch_execz .LBB18_1398
; %bb.1389:                             ;   in Loop: Header=BB18_1260 Depth=1
	v_bfe_u32 v18, v16, 23, 8
	v_sub_u32_e32 v5, 0x79, v18
	v_cmp_gt_u32_e32 vcc, s22, v18
	v_cndmask_b32_e32 v5, 0, v5, vcc
	v_cmp_eq_u32_e32 vcc, 0, v18
	v_cndmask_b32_e32 v21, v5, v19, vcc
	v_and_b32_e32 v4, 0x7fffff, v16
	v_add_u32_e32 v5, 20, v21
	v_or_b32_e32 v22, 0x800000, v4
	v_lshlrev_b64 v[16:17], v5, -1
	v_cndmask_b32_e32 v5, v22, v4, vcc
	v_add_u32_e32 v4, 19, v21
	v_bfi_b32 v16, v16, 0, v5
	v_lshlrev_b64 v[22:23], v4, 1
	v_lshrrev_b64 v[4:5], v21, v[5:6]
	v_bfi_b32 v17, v17, 0, 0
	v_cmp_eq_u64_e64 s[0:1], v[16:17], v[22:23]
	v_mov_b32_e32 v17, v5
	v_mov_b32_e32 v16, v4
	s_and_saveexec_b64 s[16:17], s[0:1]
; %bb.1390:                             ;   in Loop: Header=BB18_1260 Depth=1
	v_bfe_u32 v5, v4, 20, 1
	v_add_co_u32_e64 v5, s[0:1], v4, v5
	v_add_co_u32_e64 v16, s[0:1], -1, v5
; %bb.1391:                             ;   in Loop: Header=BB18_1260 Depth=1
	s_or_b64 exec, exec, s[16:17]
	v_add_u32_e32 v5, 0xffffff81, v18
	v_cndmask_b32_e32 v5, v5, v20, vcc
	v_lshrrev_b32_e32 v17, 23, v4
	v_add3_u32 v22, v21, v5, v17
	v_add_u32_e32 v21, 6, v22
	v_and_b32_e32 v5, 0xfffff, v16
	v_add_u32_e32 v5, v5, v4
	v_cmp_ne_u32_e32 vcc, 0, v21
                                        ; implicit-def: $vgpr16_vgpr17
                                        ; implicit-def: $vgpr18
	s_and_saveexec_b64 s[0:1], vcc
	s_xor_b64 s[0:1], exec, s[0:1]
; %bb.1392:                             ;   in Loop: Header=BB18_1260 Depth=1
	v_cmp_lt_u64_e32 vcc, s[8:9], v[5:6]
	v_add_u32_e32 v4, 7, v22
	v_cndmask_b32_e32 v18, v21, v4, vcc
	v_cndmask_b32_e64 v4, 0, 1, vcc
	v_lshrrev_b64 v[16:17], v4, v[5:6]
; %bb.1393:                             ;   in Loop: Header=BB18_1260 Depth=1
	s_andn2_saveexec_b64 s[0:1], s[0:1]
; %bb.1394:                             ;   in Loop: Header=BB18_1260 Depth=1
	v_mov_b32_e32 v17, v6
	v_bfe_u32 v18, v5, 23, 1
	v_mov_b32_e32 v16, v5
; %bb.1395:                             ;   in Loop: Header=BB18_1260 Depth=1
	s_or_b64 exec, exec, s[0:1]
	v_lshrrev_b64 v[4:5], 20, v[16:17]
	v_cmp_gt_i32_e32 vcc, 16, v18
	v_cndmask_b32_e32 v17, 0, v5, vcc
	v_cndmask_b32_e32 v16, 7, v4, vcc
	v_cmp_ne_u64_e32 vcc, 0, v[16:17]
	v_cmp_ne_u32_e64 s[0:1], 0, v18
	v_mov_b32_e32 v5, v4
	s_or_b64 s[0:1], s[0:1], vcc
	v_mov_b32_e32 v4, v3
	s_and_saveexec_b64 s[16:17], s[0:1]
	s_xor_b64 s[0:1], exec, s[16:17]
; %bb.1396:                             ;   in Loop: Header=BB18_1260 Depth=1
	v_min_i32_e32 v4, 15, v18
	v_lshl_or_b32 v3, v4, 3, v3
	v_and_or_b32 v4, v16, 7, v3
; %bb.1397:                             ;   in Loop: Header=BB18_1260 Depth=1
	s_andn2_saveexec_b64 s[0:1], s[0:1]
	s_or_b64 exec, exec, s[0:1]
.LBB18_1398:                            ;   in Loop: Header=BB18_1260 Depth=1
	s_or_b64 exec, exec, s[14:15]
                                        ; implicit-def: $vgpr3
.LBB18_1399:                            ;   in Loop: Header=BB18_1260 Depth=1
	s_andn2_saveexec_b64 s[0:1], s[12:13]
; %bb.1400:                             ;   in Loop: Header=BB18_1260 Depth=1
	v_or_b32_e32 v4, 0x7e, v3
; %bb.1401:                             ;   in Loop: Header=BB18_1260 Depth=1
	s_or_b64 exec, exec, s[0:1]
                                        ; implicit-def: $vgpr16
.LBB18_1402:                            ;   in Loop: Header=BB18_1260 Depth=1
	s_andn2_saveexec_b64 s[0:1], s[10:11]
	s_cbranch_execz .LBB18_1259
; %bb.1403:                             ;   in Loop: Header=BB18_1260 Depth=1
	v_or_b32_sdwa v4, v16, s23 dst_sel:DWORD dst_unused:UNUSED_PAD src0_sel:BYTE_3 src1_sel:DWORD
	s_branch .LBB18_1259
.LBB18_1404:
	s_endpgm
	.section	.rodata,"a",@progbits
	.p2align	6, 0x0
	.amdhsa_kernel _ZN4vllm30reshape_and_cache_flash_kernelIthLNS_18Fp8KVCacheDataTypeE1EEEvPKT_S4_PT0_S6_PKlllllliiiPKfSA_
		.amdhsa_group_segment_fixed_size 0
		.amdhsa_private_segment_fixed_size 16
		.amdhsa_kernarg_size 368
		.amdhsa_user_sgpr_count 6
		.amdhsa_user_sgpr_private_segment_buffer 1
		.amdhsa_user_sgpr_dispatch_ptr 0
		.amdhsa_user_sgpr_queue_ptr 0
		.amdhsa_user_sgpr_kernarg_segment_ptr 1
		.amdhsa_user_sgpr_dispatch_id 0
		.amdhsa_user_sgpr_flat_scratch_init 0
		.amdhsa_user_sgpr_private_segment_size 0
		.amdhsa_uses_dynamic_stack 0
		.amdhsa_system_sgpr_private_segment_wavefront_offset 1
		.amdhsa_system_sgpr_workgroup_id_x 1
		.amdhsa_system_sgpr_workgroup_id_y 0
		.amdhsa_system_sgpr_workgroup_id_z 0
		.amdhsa_system_sgpr_workgroup_info 0
		.amdhsa_system_vgpr_workitem_id 0
		.amdhsa_next_free_vgpr 64
		.amdhsa_next_free_sgpr 100
		.amdhsa_reserve_vcc 1
		.amdhsa_reserve_flat_scratch 0
		.amdhsa_float_round_mode_32 0
		.amdhsa_float_round_mode_16_64 0
		.amdhsa_float_denorm_mode_32 3
		.amdhsa_float_denorm_mode_16_64 3
		.amdhsa_dx10_clamp 1
		.amdhsa_ieee_mode 1
		.amdhsa_fp16_overflow 0
		.amdhsa_exception_fp_ieee_invalid_op 0
		.amdhsa_exception_fp_denorm_src 0
		.amdhsa_exception_fp_ieee_div_zero 0
		.amdhsa_exception_fp_ieee_overflow 0
		.amdhsa_exception_fp_ieee_underflow 0
		.amdhsa_exception_fp_ieee_inexact 0
		.amdhsa_exception_int_div_zero 0
	.end_amdhsa_kernel
	.section	.text._ZN4vllm30reshape_and_cache_flash_kernelIthLNS_18Fp8KVCacheDataTypeE1EEEvPKT_S4_PT0_S6_PKlllllliiiPKfSA_,"axG",@progbits,_ZN4vllm30reshape_and_cache_flash_kernelIthLNS_18Fp8KVCacheDataTypeE1EEEvPKT_S4_PT0_S6_PKlllllliiiPKfSA_,comdat
.Lfunc_end18:
	.size	_ZN4vllm30reshape_and_cache_flash_kernelIthLNS_18Fp8KVCacheDataTypeE1EEEvPKT_S4_PT0_S6_PKlllllliiiPKfSA_, .Lfunc_end18-_ZN4vllm30reshape_and_cache_flash_kernelIthLNS_18Fp8KVCacheDataTypeE1EEEvPKT_S4_PT0_S6_PKlllllliiiPKfSA_
                                        ; -- End function
	.set _ZN4vllm30reshape_and_cache_flash_kernelIthLNS_18Fp8KVCacheDataTypeE1EEEvPKT_S4_PT0_S6_PKlllllliiiPKfSA_.num_vgpr, 64
	.set _ZN4vllm30reshape_and_cache_flash_kernelIthLNS_18Fp8KVCacheDataTypeE1EEEvPKT_S4_PT0_S6_PKlllllliiiPKfSA_.num_agpr, 0
	.set _ZN4vllm30reshape_and_cache_flash_kernelIthLNS_18Fp8KVCacheDataTypeE1EEEvPKT_S4_PT0_S6_PKlllllliiiPKfSA_.numbered_sgpr, 100
	.set _ZN4vllm30reshape_and_cache_flash_kernelIthLNS_18Fp8KVCacheDataTypeE1EEEvPKT_S4_PT0_S6_PKlllllliiiPKfSA_.num_named_barrier, 0
	.set _ZN4vllm30reshape_and_cache_flash_kernelIthLNS_18Fp8KVCacheDataTypeE1EEEvPKT_S4_PT0_S6_PKlllllliiiPKfSA_.private_seg_size, 16
	.set _ZN4vllm30reshape_and_cache_flash_kernelIthLNS_18Fp8KVCacheDataTypeE1EEEvPKT_S4_PT0_S6_PKlllllliiiPKfSA_.uses_vcc, 1
	.set _ZN4vllm30reshape_and_cache_flash_kernelIthLNS_18Fp8KVCacheDataTypeE1EEEvPKT_S4_PT0_S6_PKlllllliiiPKfSA_.uses_flat_scratch, 0
	.set _ZN4vllm30reshape_and_cache_flash_kernelIthLNS_18Fp8KVCacheDataTypeE1EEEvPKT_S4_PT0_S6_PKlllllliiiPKfSA_.has_dyn_sized_stack, 0
	.set _ZN4vllm30reshape_and_cache_flash_kernelIthLNS_18Fp8KVCacheDataTypeE1EEEvPKT_S4_PT0_S6_PKlllllliiiPKfSA_.has_recursion, 0
	.set _ZN4vllm30reshape_and_cache_flash_kernelIthLNS_18Fp8KVCacheDataTypeE1EEEvPKT_S4_PT0_S6_PKlllllliiiPKfSA_.has_indirect_call, 0
	.section	.AMDGPU.csdata,"",@progbits
; Kernel info:
; codeLenInByte = 48820
; TotalNumSgprs: 104
; NumVgprs: 64
; ScratchSize: 16
; MemoryBound: 0
; FloatMode: 240
; IeeeMode: 1
; LDSByteSize: 0 bytes/workgroup (compile time only)
; SGPRBlocks: 12
; VGPRBlocks: 15
; NumSGPRsForWavesPerEU: 104
; NumVGPRsForWavesPerEU: 64
; Occupancy: 4
; WaveLimiterHint : 1
; COMPUTE_PGM_RSRC2:SCRATCH_EN: 1
; COMPUTE_PGM_RSRC2:USER_SGPR: 6
; COMPUTE_PGM_RSRC2:TRAP_HANDLER: 0
; COMPUTE_PGM_RSRC2:TGID_X_EN: 1
; COMPUTE_PGM_RSRC2:TGID_Y_EN: 0
; COMPUTE_PGM_RSRC2:TGID_Z_EN: 0
; COMPUTE_PGM_RSRC2:TIDIG_COMP_CNT: 0
	.section	.text._ZN4vllm30reshape_and_cache_flash_kernelI14__hip_bfloat16hLNS_18Fp8KVCacheDataTypeE1EEEvPKT_S5_PT0_S7_PKlllllliiiPKfSB_,"axG",@progbits,_ZN4vllm30reshape_and_cache_flash_kernelI14__hip_bfloat16hLNS_18Fp8KVCacheDataTypeE1EEEvPKT_S5_PT0_S7_PKlllllliiiPKfSB_,comdat
	.protected	_ZN4vllm30reshape_and_cache_flash_kernelI14__hip_bfloat16hLNS_18Fp8KVCacheDataTypeE1EEEvPKT_S5_PT0_S7_PKlllllliiiPKfSB_ ; -- Begin function _ZN4vllm30reshape_and_cache_flash_kernelI14__hip_bfloat16hLNS_18Fp8KVCacheDataTypeE1EEEvPKT_S5_PT0_S7_PKlllllliiiPKfSB_
	.globl	_ZN4vllm30reshape_and_cache_flash_kernelI14__hip_bfloat16hLNS_18Fp8KVCacheDataTypeE1EEEvPKT_S5_PT0_S7_PKlllllliiiPKfSB_
	.p2align	8
	.type	_ZN4vllm30reshape_and_cache_flash_kernelI14__hip_bfloat16hLNS_18Fp8KVCacheDataTypeE1EEEvPKT_S5_PT0_S7_PKlllllliiiPKfSB_,@function
_ZN4vllm30reshape_and_cache_flash_kernelI14__hip_bfloat16hLNS_18Fp8KVCacheDataTypeE1EEEvPKT_S5_PT0_S7_PKlllllliiiPKfSB_: ; @_ZN4vllm30reshape_and_cache_flash_kernelI14__hip_bfloat16hLNS_18Fp8KVCacheDataTypeE1EEEvPKT_S5_PT0_S7_PKlllllliiiPKfSB_
; %bb.0:
	s_mov_b64 s[98:99], s[2:3]
	s_mov_b64 s[96:97], s[0:1]
	s_load_dwordx2 s[0:1], s[4:5], 0x20
	s_add_u32 s96, s96, s7
	s_mov_b32 s7, 0
	s_addc_u32 s97, s97, 0
	s_lshl_b64 s[2:3], s[6:7], 3
	s_waitcnt lgkmcnt(0)
	s_add_u32 s0, s0, s2
	s_addc_u32 s1, s1, s3
	s_load_dwordx2 s[8:9], s[0:1], 0x0
	s_waitcnt lgkmcnt(0)
	v_cmp_lt_i64_e64 s[0:1], s[8:9], 0
	s_and_b64 vcc, exec, s[0:1]
	s_cbranch_vccnz .LBB19_1404
; %bb.1:
	s_load_dwordx4 s[44:47], s[4:5], 0x50
	s_load_dwordx8 s[24:31], s[4:5], 0x0
	s_waitcnt lgkmcnt(0)
	s_ashr_i32 s47, s46, 31
	s_or_b64 s[0:1], s[8:9], s[46:47]
	s_mov_b32 s0, s7
	s_cmp_lg_u64 s[0:1], 0
	s_cbranch_scc0 .LBB19_730
; %bb.2:
	s_ashr_i32 s0, s47, 31
	s_add_u32 s2, s46, s0
	s_mov_b32 s1, s0
	s_addc_u32 s3, s47, s0
	s_xor_b64 s[10:11], s[2:3], s[0:1]
	v_cvt_f32_u32_e32 v1, s10
	v_cvt_f32_u32_e32 v2, s11
	s_sub_u32 s7, 0, s10
	s_subb_u32 s14, 0, s11
	v_madmk_f32 v1, v2, 0x4f800000, v1
	v_rcp_f32_e32 v1, v1
	v_mul_f32_e32 v1, 0x5f7ffffc, v1
	v_mul_f32_e32 v2, 0x2f800000, v1
	v_trunc_f32_e32 v2, v2
	v_madmk_f32 v1, v2, 0xcf800000, v1
	v_cvt_u32_f32_e32 v2, v2
	v_cvt_u32_f32_e32 v1, v1
	v_readfirstlane_b32 s15, v2
	v_readfirstlane_b32 s12, v1
	s_mul_i32 s13, s7, s15
	s_mul_hi_u32 s17, s7, s12
	s_mul_i32 s16, s14, s12
	s_add_i32 s13, s17, s13
	s_add_i32 s13, s13, s16
	s_mul_i32 s18, s7, s12
	s_mul_i32 s17, s12, s13
	s_mul_hi_u32 s19, s12, s18
	s_mul_hi_u32 s16, s12, s13
	s_add_u32 s17, s19, s17
	s_addc_u32 s16, 0, s16
	s_mul_hi_u32 s20, s15, s18
	s_mul_i32 s18, s15, s18
	s_add_u32 s17, s17, s18
	s_mul_hi_u32 s19, s15, s13
	s_addc_u32 s16, s16, s20
	s_addc_u32 s17, s19, 0
	s_mul_i32 s13, s15, s13
	s_add_u32 s13, s16, s13
	s_addc_u32 s16, 0, s17
	s_add_u32 s17, s12, s13
	s_cselect_b64 s[12:13], -1, 0
	s_cmp_lg_u64 s[12:13], 0
	s_addc_u32 s15, s15, s16
	s_mul_i32 s12, s7, s15
	s_mul_hi_u32 s13, s7, s17
	s_add_i32 s12, s13, s12
	s_mul_i32 s14, s14, s17
	s_add_i32 s12, s12, s14
	s_mul_i32 s7, s7, s17
	s_mul_hi_u32 s14, s15, s7
	s_mul_i32 s16, s15, s7
	s_mul_i32 s19, s17, s12
	s_mul_hi_u32 s7, s17, s7
	s_mul_hi_u32 s18, s17, s12
	s_add_u32 s7, s7, s19
	s_addc_u32 s18, 0, s18
	s_add_u32 s7, s7, s16
	s_mul_hi_u32 s13, s15, s12
	s_addc_u32 s7, s18, s14
	s_addc_u32 s13, s13, 0
	s_mul_i32 s12, s15, s12
	s_add_u32 s7, s7, s12
	s_addc_u32 s14, 0, s13
	s_add_u32 s7, s17, s7
	s_cselect_b64 s[12:13], -1, 0
	s_cmp_lg_u64 s[12:13], 0
	s_addc_u32 s16, s15, s14
	s_ashr_i32 s12, s9, 31
	s_add_u32 s14, s8, s12
	s_mov_b32 s13, s12
	s_addc_u32 s15, s9, s12
	s_xor_b64 s[14:15], s[14:15], s[12:13]
	s_mul_i32 s18, s14, s16
	s_mul_hi_u32 s19, s14, s7
	s_mul_hi_u32 s17, s14, s16
	s_add_u32 s18, s19, s18
	s_addc_u32 s17, 0, s17
	s_mul_hi_u32 s20, s15, s7
	s_mul_i32 s7, s15, s7
	s_add_u32 s7, s18, s7
	s_mul_hi_u32 s19, s15, s16
	s_addc_u32 s7, s17, s20
	s_addc_u32 s17, s19, 0
	s_mul_i32 s16, s15, s16
	s_add_u32 s7, s7, s16
	s_addc_u32 s20, 0, s17
	s_mul_i32 s16, s10, s20
	s_mul_hi_u32 s17, s10, s7
	s_add_i32 s16, s17, s16
	s_mul_i32 s17, s11, s7
	s_add_i32 s21, s16, s17
	s_sub_i32 s18, s15, s21
	s_mul_i32 s16, s10, s7
	s_sub_u32 s14, s14, s16
	s_cselect_b64 s[16:17], -1, 0
	s_cmp_lg_u64 s[16:17], 0
	s_subb_u32 s22, s18, s11
	s_sub_u32 s23, s14, s10
	s_cselect_b64 s[18:19], -1, 0
	s_cmp_lg_u64 s[18:19], 0
	s_subb_u32 s18, s22, 0
	s_cmp_ge_u32 s18, s11
	s_cselect_b32 s19, -1, 0
	s_cmp_ge_u32 s23, s10
	s_cselect_b32 s22, -1, 0
	s_cmp_eq_u32 s18, s11
	s_cselect_b32 s18, s22, s19
	s_add_u32 s19, s7, 1
	s_addc_u32 s22, s20, 0
	s_add_u32 s23, s7, 2
	s_addc_u32 s33, s20, 0
	s_cmp_lg_u32 s18, 0
	s_cselect_b32 s18, s23, s19
	s_cselect_b32 s19, s33, s22
	s_cmp_lg_u64 s[16:17], 0
	s_subb_u32 s15, s15, s21
	s_cmp_ge_u32 s15, s11
	s_cselect_b32 s16, -1, 0
	s_cmp_ge_u32 s14, s10
	s_cselect_b32 s10, -1, 0
	s_cmp_eq_u32 s15, s11
	s_cselect_b32 s10, s10, s16
	s_cmp_lg_u32 s10, 0
	s_cselect_b32 s11, s19, s20
	s_cselect_b32 s10, s18, s7
	s_xor_b64 s[0:1], s[12:13], s[0:1]
	s_xor_b64 s[10:11], s[10:11], s[0:1]
	s_sub_u32 s10, s10, s0
	s_subb_u32 s11, s11, s1
	s_cbranch_execnz .LBB19_4
.LBB19_3:
	v_cvt_f32_u32_e32 v1, s46
	s_sub_i32 s0, 0, s46
	s_mov_b32 s11, 0
	v_rcp_iflag_f32_e32 v1, v1
	v_mul_f32_e32 v1, 0x4f7ffffe, v1
	v_cvt_u32_f32_e32 v1, v1
	v_readfirstlane_b32 s1, v1
	s_mul_i32 s0, s0, s1
	s_mul_hi_u32 s0, s1, s0
	s_add_i32 s1, s1, s0
	s_mul_hi_u32 s0, s8, s1
	s_mul_i32 s2, s0, s46
	s_sub_i32 s2, s8, s2
	s_add_i32 s1, s0, 1
	s_sub_i32 s3, s2, s46
	s_cmp_ge_u32 s2, s46
	s_cselect_b32 s0, s1, s0
	s_cselect_b32 s2, s3, s2
	s_add_i32 s1, s0, 1
	s_cmp_ge_u32 s2, s46
	s_cselect_b32 s10, s1, s0
.LBB19_4:
	s_mul_i32 s7, s10, s47
	s_mul_hi_u32 s14, s10, s46
	s_load_dwordx8 s[36:43], s[4:5], 0x28
	s_load_dwordx2 s[12:13], s[4:5], 0x48
	s_load_dwordx4 s[0:3], s[4:5], 0x60
	s_add_i32 s7, s14, s7
	s_mul_i32 s14, s11, s46
	s_add_i32 s7, s7, s14
	s_mul_i32 s14, s10, s46
	s_sub_u32 s14, s8, s14
	s_subb_u32 s15, s9, s7
	s_waitcnt lgkmcnt(0)
	s_mul_i32 s7, s43, s6
	s_mul_hi_u32 s8, s42, s6
	s_add_i32 s9, s8, s7
	s_mul_i32 s8, s42, s6
	s_lshl_b64 s[42:43], s[8:9], 1
	s_add_u32 s72, s24, s42
	s_addc_u32 s7, s25, s43
                                        ; implicit-def: $vgpr63 : SGPR spill to VGPR lane
	s_mul_hi_u32 s8, s12, s6
	v_writelane_b32 v63, s7, 0
	s_mul_i32 s7, s13, s6
	s_add_i32 s7, s8, s7
	s_mul_i32 s6, s12, s6
	s_lshl_b64 s[34:35], s[6:7], 1
	s_add_u32 s67, s26, s34
	s_mul_i32 s6, s10, s37
	s_mul_hi_u32 s7, s10, s36
	s_addc_u32 s68, s27, s35
	s_add_i32 s6, s7, s6
	s_mul_i32 s7, s11, s36
	s_add_i32 s63, s6, s7
	s_mul_i32 s64, s10, s36
	s_add_u32 s6, s28, s64
	s_mul_i32 s8, s14, s39
	s_mul_hi_u32 s9, s14, s38
	s_addc_u32 s7, s29, s63
	s_add_i32 s8, s9, s8
	s_mul_i32 s15, s15, s38
	s_add_i32 s65, s8, s15
	s_mul_i32 s66, s14, s38
	s_add_u32 s74, s6, s66
	s_addc_u32 s75, s7, s65
	s_add_u32 s6, s30, s64
	s_addc_u32 s7, s31, s63
	s_add_u32 s69, s6, s66
	s_load_dword s6, s[4:5], 0x7c
	s_load_dword s71, s[0:1], 0x0
	;; [unrolled: 1-line block ×3, first 2 shown]
	s_addc_u32 s70, s7, s65
	s_ashr_i32 s5, s45, 31
	s_mov_b32 s4, s45
	s_waitcnt lgkmcnt(0)
	s_and_b32 s62, s6, 0xffff
	s_cmp_lg_u64 s[40:41], s[4:5]
	s_mov_b64 s[0:1], -1
	s_cbranch_scc0 .LBB19_705
; %bb.5:
	v_lshrrev_b32_e32 v36, 5, v0
	v_cmp_gt_i32_e32 vcc, s44, v36
	s_mov_b64 s[0:1], exec
	v_writelane_b32 v63, s0, 1
	v_writelane_b32 v63, s1, 2
	s_and_b64 s[0:1], s[0:1], vcc
	s_mov_b64 exec, s[0:1]
	s_cbranch_execz .LBB19_704
; %bb.6:
	s_lshr_b32 s76, s62, 5
	s_and_b32 s0, s45, 7
	s_cmp_eq_u32 s0, 0
	s_cselect_b64 s[4:5], -1, 0
	s_ashr_i32 s77, s45, 3
	s_add_u32 s2, s66, s64
	s_addc_u32 s3, s65, s63
	v_mov_b32_e32 v1, s2
	v_mov_b32_e32 v2, s3
	v_mad_u64_u32 v[1:2], s[2:3], s40, v36, v[1:2]
	v_and_b32_e32 v37, 31, v0
	v_mov_b32_e32 v6, s29
	v_mad_u64_u32 v[2:3], s[2:3], s41, v36, v[2:3]
	v_lshlrev_b32_e32 v3, 3, v37
	v_add_co_u32_e32 v3, vcc, v1, v3
	s_mul_i32 s2, s41, s76
	s_mul_hi_u32 s3, s40, s76
	v_addc_co_u32_e32 v4, vcc, 0, v2, vcc
	s_add_i32 s80, s3, s2
	v_add_co_u32_e32 v5, vcc, s28, v3
	s_add_u32 s95, s24, s42
	v_addc_co_u32_e32 v6, vcc, v6, v4, vcc
	v_lshlrev_b32_e32 v9, 4, v37
	s_addc_u32 s73, s25, s43
	v_mov_b32_e32 v7, s73
	v_add_co_u32_e32 v45, vcc, s95, v9
	v_addc_co_u32_e32 v46, vcc, 0, v7, vcc
	v_mov_b32_e32 v8, s31
	v_add_co_u32_e32 v7, vcc, s30, v3
	v_addc_co_u32_e32 v8, vcc, v8, v4, vcc
	v_mov_b32_e32 v10, s29
	v_add_co_u32_e32 v42, vcc, s28, v1
	s_add_u32 s84, s26, s34
	v_addc_co_u32_e32 v43, vcc, v10, v2, vcc
	s_addc_u32 s85, s27, s35
	v_add_co_u32_e32 v44, vcc, s30, v1
	v_mov_b32_e32 v1, s85
	v_add_co_u32_e64 v48, s[2:3], s84, v9
	v_mul_lo_u32 v9, s45, v36
	v_addc_co_u32_e64 v60, s[2:3], 0, v1, s[2:3]
	v_mov_b32_e32 v3, s31
	v_readlane_b32 s2, v63, 0
	v_cmp_gt_i32_e64 s[0:1], s77, v37
	v_not_b32_e32 v62, v37
	v_or_b32_e32 v59, 32, v37
	s_mov_b32 s78, s71
	s_mov_b32 s79, s33
	s_mul_i32 s81, s40, s76
	v_addc_co_u32_e32 v47, vcc, v3, v2, vcc
	s_xor_b64 s[38:39], s[4:5], -1
	s_mov_b32 s86, 0x7f800000
	s_mov_b64 s[46:47], 0x7f800000
	s_movk_i32 s87, 0x80
	s_mov_b64 s[48:49], 0x43e00001
	s_movk_i32 s88, 0x7a
	s_movk_i32 s89, 0x79
	s_movk_i32 s90, 0xff81
	s_mov_b64 s[50:51], 0xffffff
	s_movk_i32 s91, 0x7f
	s_mov_b32 s92, 0xff00
	v_mov_b32_e32 v61, s2
	v_mov_b32_e32 v49, 0x78
	s_mov_b32 s93, 0x4020c0c
	v_mov_b32_e32 v50, 0xffffff82
	s_mov_b32 s94, 0x43e00001
	s_mov_b64 s[52:53], 0
	v_mov_b32_e32 v12, 0
	buffer_store_dword v48, off, s[96:99], 0 ; 4-byte Folded Spill
	buffer_store_dword v60, off, s[96:99], 0 offset:4 ; 4-byte Folded Spill
	buffer_store_dword v61, off, s[96:99], 0 offset:8 ; 4-byte Folded Spill
	s_branch .LBB19_9
.LBB19_7:                               ;   in Loop: Header=BB19_9 Depth=1
	s_or_b64 exec, exec, s[6:7]
.LBB19_8:                               ;   in Loop: Header=BB19_9 Depth=1
	s_or_b64 exec, exec, s[4:5]
	v_mov_b32_e32 v1, s80
	v_add_co_u32_e32 v5, vcc, s81, v5
	v_addc_co_u32_e32 v6, vcc, v6, v1, vcc
	v_add_co_u32_e32 v42, vcc, s81, v42
	v_addc_co_u32_e32 v43, vcc, v43, v1, vcc
	v_add_co_u32_e32 v7, vcc, s81, v7
	v_add_u32_e32 v36, s76, v36
	v_addc_co_u32_e32 v8, vcc, v8, v1, vcc
	v_cmp_le_i32_e32 vcc, s44, v36
	s_mul_i32 s2, s45, s76
	s_or_b64 s[52:53], vcc, s[52:53]
	v_add_co_u32_e32 v44, vcc, s81, v44
	v_add_u32_e32 v9, s2, v9
	v_addc_co_u32_e32 v47, vcc, v47, v1, vcc
	s_andn2_b64 exec, exec, s[52:53]
	s_cbranch_execz .LBB19_704
.LBB19_9:                               ; =>This Loop Header: Depth=1
                                        ;     Child Loop BB19_35 Depth 2
                                        ;     Child Loop BB19_182 Depth 2
	;; [unrolled: 1-line block ×8, first 2 shown]
	v_mul_lo_u32 v1, v36, s45
	v_mad_u64_u32 v[15:16], s[2:3], s40, v36, 0
	v_ashrrev_i32_e32 v10, 31, v9
	v_ashrrev_i32_e32 v2, 31, v1
	v_lshlrev_b64 v[18:19], 1, v[1:2]
	v_mov_b32_e32 v1, v16
	v_add_co_u32_e32 v52, vcc, s72, v18
	s_waitcnt vmcnt(0)
	v_addc_co_u32_e32 v53, vcc, v61, v19, vcc
	v_mad_u64_u32 v[16:17], s[2:3], s41, v36, v[1:2]
	v_and_b32_e32 v11, 15, v52
	v_cmp_ne_u64_e32 vcc, 0, v[11:12]
	v_lshlrev_b64 v[13:14], 1, v[9:10]
	s_or_b64 s[2:3], s[38:39], vcc
	s_and_saveexec_b64 s[4:5], s[2:3]
	s_xor_b64 s[54:55], exec, s[4:5]
	s_cbranch_execz .LBB19_208
; %bb.10:                               ;   in Loop: Header=BB19_9 Depth=1
	v_mov_b32_e32 v1, s75
	v_add_co_u32_e32 v54, vcc, s74, v15
	v_addc_co_u32_e32 v55, vcc, v1, v16, vcc
	v_sub_u32_e32 v1, 0, v52
	v_bfe_u32 v1, v1, 1, 3
	v_min_i32_e32 v20, s45, v1
	v_cmp_lt_i32_e32 vcc, v37, v20
	s_and_saveexec_b64 s[4:5], vcc
	s_cbranch_execz .LBB19_32
; %bb.11:                               ;   in Loop: Header=BB19_9 Depth=1
	v_lshlrev_b32_e32 v1, 1, v37
	v_add_co_u32_e32 v1, vcc, v52, v1
	v_addc_co_u32_e32 v2, vcc, 0, v53, vcc
	global_load_ushort v1, v[1:2], off
	s_waitcnt vmcnt(0)
	v_lshlrev_b32_e32 v1, 16, v1
	v_div_scale_f32 v2, s[2:3], s71, s71, v1
	v_div_scale_f32 v3, vcc, v1, s71, v1
	v_rcp_f32_e32 v4, v2
	v_fma_f32 v10, -v2, v4, 1.0
	v_fmac_f32_e32 v4, v10, v4
	v_mul_f32_e32 v10, v3, v4
	v_fma_f32 v11, -v2, v10, v3
	v_fmac_f32_e32 v10, v11, v4
	v_fma_f32 v2, -v2, v10, v3
	v_div_fmas_f32 v2, v2, v4, v10
	v_div_fixup_f32 v1, v2, s71, v1
	v_and_b32_e32 v11, 0x7f800000, v1
	v_cmp_ne_u64_e32 vcc, s[46:47], v[11:12]
                                        ; implicit-def: $vgpr2
	s_and_saveexec_b64 s[2:3], vcc
	s_xor_b64 s[6:7], exec, s[2:3]
	s_cbranch_execz .LBB19_29
; %bb.12:                               ;   in Loop: Header=BB19_9 Depth=1
	v_and_b32_e32 v11, 0x7fffffff, v1
	v_cmp_gt_u64_e32 vcc, s[48:49], v[11:12]
	v_and_b32_sdwa v4, v1, s87 dst_sel:DWORD dst_unused:UNUSED_PAD src0_sel:BYTE_3 src1_sel:DWORD
                                        ; implicit-def: $vgpr2
	s_and_saveexec_b64 s[2:3], vcc
	s_xor_b64 s[8:9], exec, s[2:3]
	s_cbranch_execz .LBB19_26
; %bb.13:                               ;   in Loop: Header=BB19_9 Depth=1
	v_cmp_ne_u32_e32 vcc, 0, v1
	v_mov_b32_e32 v2, 0
	s_and_saveexec_b64 s[10:11], vcc
	s_cbranch_execz .LBB19_25
; %bb.14:                               ;   in Loop: Header=BB19_9 Depth=1
	v_bfe_u32 v10, v1, 23, 8
	v_and_b32_e32 v3, 0x7fffff, v1
	v_sub_u32_e32 v1, 0x79, v10
	v_cmp_gt_u32_e32 vcc, s88, v10
	v_cndmask_b32_e32 v1, 0, v1, vcc
	v_cmp_eq_u32_e32 vcc, 0, v10
	v_cndmask_b32_e32 v17, v1, v49, vcc
	v_add_u32_e32 v1, 20, v17
	v_or_b32_e32 v11, 0x800000, v3
	v_lshlrev_b64 v[1:2], v1, -1
	v_cndmask_b32_e32 v11, v11, v3, vcc
	v_bfi_b32 v21, v1, 0, v11
	v_add_u32_e32 v1, 19, v17
	v_bfi_b32 v22, v2, 0, 0
	v_lshlrev_b64 v[23:24], v1, 1
	v_lshrrev_b64 v[1:2], v17, v[11:12]
	v_cmp_eq_u64_e64 s[2:3], v[21:22], v[23:24]
	v_mov_b32_e32 v3, v2
	v_mov_b32_e32 v2, v1
	s_and_saveexec_b64 s[12:13], s[2:3]
; %bb.15:                               ;   in Loop: Header=BB19_9 Depth=1
	v_bfe_u32 v2, v1, 20, 1
	v_add_co_u32_e64 v2, s[2:3], v1, v2
	v_add_co_u32_e64 v2, s[2:3], -1, v2
; %bb.16:                               ;   in Loop: Header=BB19_9 Depth=1
	s_or_b64 exec, exec, s[12:13]
	v_add_u32_e32 v3, 0xffffff81, v10
	v_cndmask_b32_e32 v3, v3, v50, vcc
	v_lshrrev_b32_e32 v10, 23, v1
	v_add3_u32 v17, v17, v3, v10
	v_add_u32_e32 v10, 6, v17
	v_and_b32_e32 v2, 0xfffff, v2
	v_add_u32_e32 v11, v2, v1
	v_cmp_ne_u32_e32 vcc, 0, v10
                                        ; implicit-def: $vgpr1_vgpr2
                                        ; implicit-def: $vgpr3
	s_and_saveexec_b64 s[2:3], vcc
	s_xor_b64 s[2:3], exec, s[2:3]
; %bb.17:                               ;   in Loop: Header=BB19_9 Depth=1
	v_cmp_lt_u64_e32 vcc, s[50:51], v[11:12]
	v_add_u32_e32 v1, 7, v17
	v_cndmask_b32_e32 v3, v10, v1, vcc
	v_cndmask_b32_e64 v1, 0, 1, vcc
	v_lshrrev_b64 v[1:2], v1, v[11:12]
; %bb.18:                               ;   in Loop: Header=BB19_9 Depth=1
	s_andn2_saveexec_b64 s[2:3], s[2:3]
; %bb.19:                               ;   in Loop: Header=BB19_9 Depth=1
	v_mov_b32_e32 v1, v11
	v_bfe_u32 v3, v11, 23, 1
	v_mov_b32_e32 v2, v12
; %bb.20:                               ;   in Loop: Header=BB19_9 Depth=1
	s_or_b64 exec, exec, s[2:3]
	v_lshrrev_b64 v[1:2], 20, v[1:2]
	v_cmp_gt_i32_e32 vcc, 16, v3
	v_cndmask_b32_e32 v2, 0, v2, vcc
	v_cndmask_b32_e32 v1, 7, v1, vcc
	v_cmp_ne_u64_e32 vcc, 0, v[1:2]
	v_cmp_ne_u32_e64 s[2:3], 0, v3
	s_or_b64 s[2:3], s[2:3], vcc
                                        ; implicit-def: $vgpr2
	s_and_saveexec_b64 s[12:13], s[2:3]
	s_xor_b64 s[2:3], exec, s[12:13]
; %bb.21:                               ;   in Loop: Header=BB19_9 Depth=1
	v_min_i32_e32 v2, 15, v3
	v_lshl_or_b32 v2, v2, 3, v4
	v_and_or_b32 v2, v1, 7, v2
                                        ; implicit-def: $vgpr4
; %bb.22:                               ;   in Loop: Header=BB19_9 Depth=1
	s_andn2_saveexec_b64 s[2:3], s[2:3]
; %bb.23:                               ;   in Loop: Header=BB19_9 Depth=1
	v_mov_b32_e32 v2, v4
; %bb.24:                               ;   in Loop: Header=BB19_9 Depth=1
	s_or_b64 exec, exec, s[2:3]
.LBB19_25:                              ;   in Loop: Header=BB19_9 Depth=1
	s_or_b64 exec, exec, s[10:11]
                                        ; implicit-def: $vgpr4
.LBB19_26:                              ;   in Loop: Header=BB19_9 Depth=1
	s_andn2_saveexec_b64 s[2:3], s[8:9]
; %bb.27:                               ;   in Loop: Header=BB19_9 Depth=1
	v_or_b32_e32 v2, 0x7e, v4
; %bb.28:                               ;   in Loop: Header=BB19_9 Depth=1
	s_or_b64 exec, exec, s[2:3]
                                        ; implicit-def: $vgpr1
.LBB19_29:                              ;   in Loop: Header=BB19_9 Depth=1
	s_andn2_saveexec_b64 s[2:3], s[6:7]
; %bb.30:                               ;   in Loop: Header=BB19_9 Depth=1
	v_or_b32_sdwa v2, v1, s91 dst_sel:DWORD dst_unused:UNUSED_PAD src0_sel:BYTE_3 src1_sel:DWORD
; %bb.31:                               ;   in Loop: Header=BB19_9 Depth=1
	s_or_b64 exec, exec, s[2:3]
	v_add_co_u32_e32 v3, vcc, v54, v37
	v_addc_co_u32_e32 v4, vcc, 0, v55, vcc
	global_store_byte v[3:4], v2, off
.LBB19_32:                              ;   in Loop: Header=BB19_9 Depth=1
	s_or_b64 exec, exec, s[4:5]
	v_sub_u32_e32 v51, s45, v20
	v_ashrrev_i32_e32 v1, 31, v51
	v_lshrrev_b32_e32 v1, 29, v1
	v_ashrrev_i32_e32 v21, 31, v20
	v_add_u32_e32 v1, v51, v1
	v_ashrrev_i32_e32 v56, 3, v1
	v_lshlrev_b64 v[22:23], 1, v[20:21]
	v_cmp_lt_i32_e32 vcc, v37, v56
	s_and_saveexec_b64 s[4:5], vcc
	s_cbranch_execz .LBB19_179
; %bb.33:                               ;   in Loop: Header=BB19_9 Depth=1
	v_add_co_u32_e32 v24, vcc, v5, v20
	v_addc_co_u32_e32 v25, vcc, v6, v21, vcc
	v_add_co_u32_e32 v1, vcc, v22, v13
	v_addc_co_u32_e32 v2, vcc, v23, v14, vcc
	;; [unrolled: 2-line block ×3, first 2 shown]
	s_mov_b64 s[6:7], 0
	v_mov_b32_e32 v57, v37
	s_branch .LBB19_35
.LBB19_34:                              ;   in Loop: Header=BB19_35 Depth=2
	s_or_b64 exec, exec, s[2:3]
	v_lshlrev_b32_e32 v4, 16, v31
	v_lshlrev_b32_e32 v3, 24, v32
	v_and_b32_e32 v4, 0xff0000, v4
	v_lshlrev_b32_e32 v2, 8, v2
	v_or_b32_e32 v3, v3, v4
	v_and_b32_e32 v2, 0xff00, v2
	v_and_b32_e32 v4, 0xff, v30
	v_or3_b32 v2, v3, v2, v4
	v_lshlrev_b32_e32 v3, 16, v29
	v_lshlrev_b32_e32 v4, 8, v28
	v_perm_b32 v1, v1, v3, s93
	v_and_or_b32 v1, v4, s92, v1
	v_or_b32_sdwa v1, v1, v10 dst_sel:DWORD dst_unused:UNUSED_PAD src0_sel:DWORD src1_sel:BYTE_0
	global_store_dwordx2 v[24:25], v[1:2], off
	v_add_co_u32_e32 v24, vcc, 0x100, v24
	v_add_u32_e32 v57, 32, v57
	v_addc_co_u32_e32 v25, vcc, 0, v25, vcc
	v_add_co_u32_e32 v26, vcc, 0x200, v26
	v_cmp_ge_i32_e64 s[2:3], v57, v56
	s_or_b64 s[6:7], s[2:3], s[6:7]
	v_addc_co_u32_e32 v27, vcc, 0, v27, vcc
	s_andn2_b64 exec, exec, s[6:7]
	s_cbranch_execz .LBB19_179
.LBB19_35:                              ;   Parent Loop BB19_9 Depth=1
                                        ; =>  This Inner Loop Header: Depth=2
	global_load_dwordx4 v[1:4], v[26:27], off
	s_waitcnt vmcnt(0)
	v_lshlrev_b32_e32 v10, 16, v1
	v_div_scale_f32 v11, s[2:3], s71, s71, v10
	v_div_scale_f32 v17, vcc, v10, s71, v10
	v_rcp_f32_e32 v28, v11
	v_fma_f32 v29, -v11, v28, 1.0
	v_fmac_f32_e32 v28, v29, v28
	v_mul_f32_e32 v29, v17, v28
	v_fma_f32 v30, -v11, v29, v17
	v_fmac_f32_e32 v29, v30, v28
	v_fma_f32 v11, -v11, v29, v17
	v_div_fmas_f32 v11, v11, v28, v29
	v_div_fixup_f32 v28, v11, s71, v10
	v_and_b32_e32 v11, 0x7f800000, v28
	v_cmp_ne_u64_e32 vcc, s[46:47], v[11:12]
                                        ; implicit-def: $vgpr10_vgpr11
	s_and_saveexec_b64 s[2:3], vcc
	s_xor_b64 s[8:9], exec, s[2:3]
	s_cbranch_execz .LBB19_51
; %bb.36:                               ;   in Loop: Header=BB19_35 Depth=2
	v_and_b32_e32 v11, 0x7fffffff, v28
	v_cmp_gt_u64_e32 vcc, s[48:49], v[11:12]
	v_and_b32_sdwa v17, v28, s87 dst_sel:DWORD dst_unused:UNUSED_PAD src0_sel:BYTE_3 src1_sel:DWORD
                                        ; implicit-def: $vgpr10_vgpr11
	s_and_saveexec_b64 s[2:3], vcc
	s_xor_b64 s[10:11], exec, s[2:3]
	s_cbranch_execz .LBB19_48
; %bb.37:                               ;   in Loop: Header=BB19_35 Depth=2
	v_mov_b32_e32 v10, 0
	v_cmp_ne_u32_e32 vcc, 0, v28
	v_mov_b32_e32 v11, 0
	s_and_saveexec_b64 s[12:13], vcc
	s_cbranch_execz .LBB19_47
; %bb.38:                               ;   in Loop: Header=BB19_35 Depth=2
	v_bfe_u32 v30, v28, 23, 8
	v_sub_u32_e32 v11, 0x79, v30
	v_cmp_gt_u32_e32 vcc, s88, v30
	v_cndmask_b32_e32 v11, 0, v11, vcc
	v_cmp_eq_u32_e32 vcc, 0, v30
	v_cndmask_b32_e32 v31, v11, v49, vcc
	v_and_b32_e32 v10, 0x7fffff, v28
	v_add_u32_e32 v11, 20, v31
	v_or_b32_e32 v32, 0x800000, v10
	v_lshlrev_b64 v[28:29], v11, -1
	v_cndmask_b32_e32 v11, v32, v10, vcc
	v_add_u32_e32 v10, 19, v31
	v_bfi_b32 v28, v28, 0, v11
	v_lshlrev_b64 v[32:33], v10, 1
	v_lshrrev_b64 v[10:11], v31, v[11:12]
	v_bfi_b32 v29, v29, 0, 0
	v_cmp_eq_u64_e64 s[2:3], v[28:29], v[32:33]
	v_mov_b32_e32 v29, v11
	v_mov_b32_e32 v28, v10
	s_and_saveexec_b64 s[14:15], s[2:3]
; %bb.39:                               ;   in Loop: Header=BB19_35 Depth=2
	v_bfe_u32 v11, v10, 20, 1
	v_add_co_u32_e64 v11, s[2:3], v10, v11
	v_add_co_u32_e64 v28, s[2:3], -1, v11
; %bb.40:                               ;   in Loop: Header=BB19_35 Depth=2
	s_or_b64 exec, exec, s[14:15]
	v_add_u32_e32 v11, 0xffffff81, v30
	v_cndmask_b32_e32 v11, v11, v50, vcc
	v_lshrrev_b32_e32 v29, 23, v10
	v_add3_u32 v32, v31, v11, v29
	v_add_u32_e32 v31, 6, v32
	v_and_b32_e32 v11, 0xfffff, v28
	v_add_u32_e32 v11, v11, v10
	v_cmp_ne_u32_e32 vcc, 0, v31
                                        ; implicit-def: $vgpr28_vgpr29
                                        ; implicit-def: $vgpr30
	s_and_saveexec_b64 s[2:3], vcc
	s_xor_b64 s[2:3], exec, s[2:3]
; %bb.41:                               ;   in Loop: Header=BB19_35 Depth=2
	v_cmp_lt_u64_e32 vcc, s[50:51], v[11:12]
	v_add_u32_e32 v10, 7, v32
	v_cndmask_b32_e32 v30, v31, v10, vcc
	v_cndmask_b32_e64 v10, 0, 1, vcc
	v_lshrrev_b64 v[28:29], v10, v[11:12]
; %bb.42:                               ;   in Loop: Header=BB19_35 Depth=2
	s_andn2_saveexec_b64 s[2:3], s[2:3]
; %bb.43:                               ;   in Loop: Header=BB19_35 Depth=2
	v_mov_b32_e32 v29, v12
	v_bfe_u32 v30, v11, 23, 1
	v_mov_b32_e32 v28, v11
; %bb.44:                               ;   in Loop: Header=BB19_35 Depth=2
	s_or_b64 exec, exec, s[2:3]
	v_lshrrev_b64 v[10:11], 20, v[28:29]
	v_cmp_gt_i32_e32 vcc, 16, v30
	v_cndmask_b32_e32 v29, 0, v11, vcc
	v_cndmask_b32_e32 v28, 7, v10, vcc
	v_cmp_ne_u64_e32 vcc, 0, v[28:29]
	v_cmp_ne_u32_e64 s[2:3], 0, v30
	s_or_b64 s[2:3], s[2:3], vcc
	v_mov_b32_e32 v10, v17
	v_mov_b32_e32 v11, v18
	s_and_saveexec_b64 s[14:15], s[2:3]
	s_xor_b64 s[2:3], exec, s[14:15]
; %bb.45:                               ;   in Loop: Header=BB19_35 Depth=2
	v_min_i32_e32 v10, 15, v30
	v_lshl_or_b32 v10, v10, 3, v17
	v_and_or_b32 v10, v28, 7, v10
; %bb.46:                               ;   in Loop: Header=BB19_35 Depth=2
	s_andn2_saveexec_b64 s[2:3], s[2:3]
	s_or_b64 exec, exec, s[2:3]
.LBB19_47:                              ;   in Loop: Header=BB19_35 Depth=2
	s_or_b64 exec, exec, s[12:13]
                                        ; implicit-def: $vgpr17
.LBB19_48:                              ;   in Loop: Header=BB19_35 Depth=2
	s_andn2_saveexec_b64 s[2:3], s[10:11]
; %bb.49:                               ;   in Loop: Header=BB19_35 Depth=2
	v_or_b32_e32 v10, 0x7e, v17
; %bb.50:                               ;   in Loop: Header=BB19_35 Depth=2
	s_or_b64 exec, exec, s[2:3]
                                        ; implicit-def: $vgpr28
.LBB19_51:                              ;   in Loop: Header=BB19_35 Depth=2
	s_andn2_saveexec_b64 s[2:3], s[8:9]
; %bb.52:                               ;   in Loop: Header=BB19_35 Depth=2
	v_or_b32_sdwa v10, v28, s91 dst_sel:DWORD dst_unused:UNUSED_PAD src0_sel:BYTE_3 src1_sel:DWORD
; %bb.53:                               ;   in Loop: Header=BB19_35 Depth=2
	s_or_b64 exec, exec, s[2:3]
	v_and_b32_e32 v1, 0xffff0000, v1
	v_div_scale_f32 v11, s[2:3], s71, s71, v1
	v_div_scale_f32 v17, vcc, v1, s71, v1
	v_rcp_f32_e32 v28, v11
	v_fma_f32 v29, -v11, v28, 1.0
	v_fmac_f32_e32 v28, v29, v28
	v_mul_f32_e32 v29, v17, v28
	v_fma_f32 v30, -v11, v29, v17
	v_fmac_f32_e32 v29, v30, v28
	v_fma_f32 v11, -v11, v29, v17
	v_div_fmas_f32 v11, v11, v28, v29
                                        ; implicit-def: $vgpr28_vgpr29
	v_div_fixup_f32 v17, v11, s71, v1
	v_and_b32_e32 v11, 0x7f800000, v17
	v_cmp_ne_u64_e32 vcc, s[46:47], v[11:12]
	s_and_saveexec_b64 s[2:3], vcc
	s_xor_b64 s[8:9], exec, s[2:3]
	s_cbranch_execz .LBB19_69
; %bb.54:                               ;   in Loop: Header=BB19_35 Depth=2
	v_and_b32_e32 v11, 0x7fffffff, v17
	v_cmp_gt_u64_e32 vcc, s[48:49], v[11:12]
	v_and_b32_sdwa v1, v17, s87 dst_sel:DWORD dst_unused:UNUSED_PAD src0_sel:BYTE_3 src1_sel:DWORD
                                        ; implicit-def: $vgpr28_vgpr29
	s_and_saveexec_b64 s[2:3], vcc
	s_xor_b64 s[10:11], exec, s[2:3]
	s_cbranch_execz .LBB19_66
; %bb.55:                               ;   in Loop: Header=BB19_35 Depth=2
	v_mov_b32_e32 v28, 0
	v_cmp_ne_u32_e32 vcc, 0, v17
	v_mov_b32_e32 v29, 0
	s_and_saveexec_b64 s[12:13], vcc
	s_cbranch_execz .LBB19_65
; %bb.56:                               ;   in Loop: Header=BB19_35 Depth=2
	v_and_b32_e32 v11, 0x7fffff, v17
	v_bfe_u32 v17, v17, 23, 8
	v_sub_u32_e32 v28, 0x79, v17
	v_cmp_gt_u32_e32 vcc, s88, v17
	v_cndmask_b32_e32 v28, 0, v28, vcc
	v_cmp_eq_u32_e32 vcc, 0, v17
	v_cndmask_b32_e32 v31, v28, v49, vcc
	v_add_u32_e32 v28, 20, v31
	v_or_b32_e32 v30, 0x800000, v11
	v_lshlrev_b64 v[28:29], v28, -1
	v_cndmask_b32_e32 v11, v30, v11, vcc
	v_bfi_b32 v32, v28, 0, v11
	v_add_u32_e32 v28, 19, v31
	v_bfi_b32 v33, v29, 0, 0
	v_lshlrev_b64 v[34:35], v28, 1
	v_lshrrev_b64 v[28:29], v31, v[11:12]
	v_cmp_eq_u64_e64 s[2:3], v[32:33], v[34:35]
	v_mov_b32_e32 v30, v29
	v_mov_b32_e32 v29, v28
	s_and_saveexec_b64 s[14:15], s[2:3]
; %bb.57:                               ;   in Loop: Header=BB19_35 Depth=2
	v_bfe_u32 v11, v28, 20, 1
	v_add_co_u32_e64 v11, s[2:3], v28, v11
	v_add_co_u32_e64 v29, s[2:3], -1, v11
; %bb.58:                               ;   in Loop: Header=BB19_35 Depth=2
	s_or_b64 exec, exec, s[14:15]
	v_add_u32_e32 v11, 0xffffff81, v17
	v_cndmask_b32_e32 v11, v11, v50, vcc
	v_lshrrev_b32_e32 v17, 23, v28
	v_add3_u32 v31, v31, v11, v17
	v_add_u32_e32 v30, 6, v31
	v_and_b32_e32 v11, 0xfffff, v29
	v_add_u32_e32 v11, v11, v28
	v_cmp_ne_u32_e32 vcc, 0, v30
                                        ; implicit-def: $vgpr28_vgpr29
                                        ; implicit-def: $vgpr17
	s_and_saveexec_b64 s[2:3], vcc
	s_xor_b64 s[2:3], exec, s[2:3]
; %bb.59:                               ;   in Loop: Header=BB19_35 Depth=2
	v_cmp_lt_u64_e32 vcc, s[50:51], v[11:12]
	v_add_u32_e32 v17, 7, v31
	v_cndmask_b32_e64 v28, 0, 1, vcc
	v_lshrrev_b64 v[28:29], v28, v[11:12]
	v_cndmask_b32_e32 v17, v30, v17, vcc
; %bb.60:                               ;   in Loop: Header=BB19_35 Depth=2
	s_andn2_saveexec_b64 s[2:3], s[2:3]
; %bb.61:                               ;   in Loop: Header=BB19_35 Depth=2
	v_mov_b32_e32 v29, v12
	v_bfe_u32 v17, v11, 23, 1
	v_mov_b32_e32 v28, v11
; %bb.62:                               ;   in Loop: Header=BB19_35 Depth=2
	s_or_b64 exec, exec, s[2:3]
	v_lshrrev_b64 v[28:29], 20, v[28:29]
	v_cmp_gt_i32_e32 vcc, 16, v17
	v_cndmask_b32_e32 v31, 0, v29, vcc
	v_cndmask_b32_e32 v30, 7, v28, vcc
	v_cmp_ne_u64_e32 vcc, 0, v[30:31]
	v_cmp_ne_u32_e64 s[2:3], 0, v17
	v_mov_b32_e32 v29, v2
	s_or_b64 s[2:3], s[2:3], vcc
	v_mov_b32_e32 v28, v1
	s_and_saveexec_b64 s[14:15], s[2:3]
	s_xor_b64 s[2:3], exec, s[14:15]
; %bb.63:                               ;   in Loop: Header=BB19_35 Depth=2
	v_min_i32_e32 v11, 15, v17
	v_lshl_or_b32 v1, v11, 3, v1
	v_and_or_b32 v28, v30, 7, v1
; %bb.64:                               ;   in Loop: Header=BB19_35 Depth=2
	s_andn2_saveexec_b64 s[2:3], s[2:3]
	s_or_b64 exec, exec, s[2:3]
.LBB19_65:                              ;   in Loop: Header=BB19_35 Depth=2
	s_or_b64 exec, exec, s[12:13]
                                        ; implicit-def: $vgpr1
.LBB19_66:                              ;   in Loop: Header=BB19_35 Depth=2
	s_andn2_saveexec_b64 s[2:3], s[10:11]
; %bb.67:                               ;   in Loop: Header=BB19_35 Depth=2
	v_or_b32_e32 v28, 0x7e, v1
; %bb.68:                               ;   in Loop: Header=BB19_35 Depth=2
	s_or_b64 exec, exec, s[2:3]
                                        ; implicit-def: $vgpr17
.LBB19_69:                              ;   in Loop: Header=BB19_35 Depth=2
	s_andn2_saveexec_b64 s[2:3], s[8:9]
; %bb.70:                               ;   in Loop: Header=BB19_35 Depth=2
	v_or_b32_sdwa v28, v17, s91 dst_sel:DWORD dst_unused:UNUSED_PAD src0_sel:BYTE_3 src1_sel:DWORD
; %bb.71:                               ;   in Loop: Header=BB19_35 Depth=2
	s_or_b64 exec, exec, s[2:3]
	v_lshlrev_b32_e32 v1, 16, v2
	v_div_scale_f32 v11, s[2:3], s71, s71, v1
	v_div_scale_f32 v17, vcc, v1, s71, v1
	v_rcp_f32_e32 v29, v11
	v_fma_f32 v30, -v11, v29, 1.0
	v_fmac_f32_e32 v29, v30, v29
	v_mul_f32_e32 v30, v17, v29
	v_fma_f32 v31, -v11, v30, v17
	v_fmac_f32_e32 v30, v31, v29
	v_fma_f32 v11, -v11, v30, v17
	v_div_fmas_f32 v11, v11, v29, v30
                                        ; implicit-def: $vgpr29_vgpr30
	v_div_fixup_f32 v17, v11, s71, v1
	v_and_b32_e32 v11, 0x7f800000, v17
	v_cmp_ne_u64_e32 vcc, s[46:47], v[11:12]
	s_and_saveexec_b64 s[2:3], vcc
	s_xor_b64 s[8:9], exec, s[2:3]
	s_cbranch_execz .LBB19_87
; %bb.72:                               ;   in Loop: Header=BB19_35 Depth=2
	v_and_b32_e32 v11, 0x7fffffff, v17
	v_cmp_gt_u64_e32 vcc, s[48:49], v[11:12]
	v_and_b32_sdwa v1, v17, s87 dst_sel:DWORD dst_unused:UNUSED_PAD src0_sel:BYTE_3 src1_sel:DWORD
                                        ; implicit-def: $vgpr29_vgpr30
	s_and_saveexec_b64 s[2:3], vcc
	s_xor_b64 s[10:11], exec, s[2:3]
	s_cbranch_execz .LBB19_84
; %bb.73:                               ;   in Loop: Header=BB19_35 Depth=2
	v_mov_b32_e32 v29, 0
	v_cmp_ne_u32_e32 vcc, 0, v17
	v_mov_b32_e32 v30, 0
	s_and_saveexec_b64 s[12:13], vcc
	s_cbranch_execz .LBB19_83
; %bb.74:                               ;   in Loop: Header=BB19_35 Depth=2
	v_and_b32_e32 v11, 0x7fffff, v17
	v_bfe_u32 v17, v17, 23, 8
	v_sub_u32_e32 v29, 0x79, v17
	v_cmp_gt_u32_e32 vcc, s88, v17
	v_cndmask_b32_e32 v29, 0, v29, vcc
	v_cmp_eq_u32_e32 vcc, 0, v17
	v_cndmask_b32_e32 v32, v29, v49, vcc
	v_add_u32_e32 v29, 20, v32
	v_or_b32_e32 v31, 0x800000, v11
	v_lshlrev_b64 v[29:30], v29, -1
	v_cndmask_b32_e32 v11, v31, v11, vcc
	v_bfi_b32 v33, v29, 0, v11
	v_add_u32_e32 v29, 19, v32
	v_bfi_b32 v34, v30, 0, 0
	v_lshlrev_b64 v[38:39], v29, 1
	v_lshrrev_b64 v[29:30], v32, v[11:12]
	v_cmp_eq_u64_e64 s[2:3], v[33:34], v[38:39]
	v_mov_b32_e32 v31, v30
	v_mov_b32_e32 v30, v29
	s_and_saveexec_b64 s[14:15], s[2:3]
; %bb.75:                               ;   in Loop: Header=BB19_35 Depth=2
	v_bfe_u32 v11, v29, 20, 1
	v_add_co_u32_e64 v11, s[2:3], v29, v11
	v_add_co_u32_e64 v30, s[2:3], -1, v11
; %bb.76:                               ;   in Loop: Header=BB19_35 Depth=2
	s_or_b64 exec, exec, s[14:15]
	v_add_u32_e32 v11, 0xffffff81, v17
	v_cndmask_b32_e32 v11, v11, v50, vcc
	v_lshrrev_b32_e32 v17, 23, v29
	v_add3_u32 v32, v32, v11, v17
	v_add_u32_e32 v31, 6, v32
	v_and_b32_e32 v11, 0xfffff, v30
	v_add_u32_e32 v11, v11, v29
	v_cmp_ne_u32_e32 vcc, 0, v31
                                        ; implicit-def: $vgpr29_vgpr30
                                        ; implicit-def: $vgpr17
	s_and_saveexec_b64 s[2:3], vcc
	s_xor_b64 s[2:3], exec, s[2:3]
; %bb.77:                               ;   in Loop: Header=BB19_35 Depth=2
	v_cmp_lt_u64_e32 vcc, s[50:51], v[11:12]
	v_add_u32_e32 v17, 7, v32
	v_cndmask_b32_e64 v29, 0, 1, vcc
	v_lshrrev_b64 v[29:30], v29, v[11:12]
	v_cndmask_b32_e32 v17, v31, v17, vcc
; %bb.78:                               ;   in Loop: Header=BB19_35 Depth=2
	s_andn2_saveexec_b64 s[2:3], s[2:3]
; %bb.79:                               ;   in Loop: Header=BB19_35 Depth=2
	v_mov_b32_e32 v30, v12
	v_bfe_u32 v17, v11, 23, 1
	v_mov_b32_e32 v29, v11
; %bb.80:                               ;   in Loop: Header=BB19_35 Depth=2
	s_or_b64 exec, exec, s[2:3]
	v_lshrrev_b64 v[29:30], 20, v[29:30]
	v_cmp_gt_i32_e32 vcc, 16, v17
	v_cndmask_b32_e32 v32, 0, v30, vcc
	v_cndmask_b32_e32 v31, 7, v29, vcc
	v_cmp_ne_u64_e32 vcc, 0, v[31:32]
	v_cmp_ne_u32_e64 s[2:3], 0, v17
	v_mov_b32_e32 v30, v2
	s_or_b64 s[2:3], s[2:3], vcc
	v_mov_b32_e32 v29, v1
	s_and_saveexec_b64 s[14:15], s[2:3]
	s_xor_b64 s[2:3], exec, s[14:15]
; %bb.81:                               ;   in Loop: Header=BB19_35 Depth=2
	v_min_i32_e32 v11, 15, v17
	v_lshl_or_b32 v1, v11, 3, v1
	v_and_or_b32 v29, v31, 7, v1
; %bb.82:                               ;   in Loop: Header=BB19_35 Depth=2
	s_andn2_saveexec_b64 s[2:3], s[2:3]
	s_or_b64 exec, exec, s[2:3]
.LBB19_83:                              ;   in Loop: Header=BB19_35 Depth=2
	s_or_b64 exec, exec, s[12:13]
                                        ; implicit-def: $vgpr1
.LBB19_84:                              ;   in Loop: Header=BB19_35 Depth=2
	s_andn2_saveexec_b64 s[2:3], s[10:11]
; %bb.85:                               ;   in Loop: Header=BB19_35 Depth=2
	v_or_b32_e32 v29, 0x7e, v1
; %bb.86:                               ;   in Loop: Header=BB19_35 Depth=2
	s_or_b64 exec, exec, s[2:3]
                                        ; implicit-def: $vgpr17
.LBB19_87:                              ;   in Loop: Header=BB19_35 Depth=2
	s_andn2_saveexec_b64 s[2:3], s[8:9]
; %bb.88:                               ;   in Loop: Header=BB19_35 Depth=2
	v_or_b32_sdwa v29, v17, s91 dst_sel:DWORD dst_unused:UNUSED_PAD src0_sel:BYTE_3 src1_sel:DWORD
; %bb.89:                               ;   in Loop: Header=BB19_35 Depth=2
	s_or_b64 exec, exec, s[2:3]
	v_and_b32_e32 v1, 0xffff0000, v2
	v_div_scale_f32 v2, s[2:3], s71, s71, v1
	v_div_scale_f32 v11, vcc, v1, s71, v1
	v_rcp_f32_e32 v17, v2
	v_fma_f32 v30, -v2, v17, 1.0
	v_fmac_f32_e32 v17, v30, v17
	v_mul_f32_e32 v30, v11, v17
	v_fma_f32 v31, -v2, v30, v11
	v_fmac_f32_e32 v30, v31, v17
	v_fma_f32 v2, -v2, v30, v11
	v_div_fmas_f32 v2, v2, v17, v30
	v_div_fixup_f32 v30, v2, s71, v1
	v_and_b32_e32 v11, 0x7f800000, v30
	v_cmp_ne_u64_e32 vcc, s[46:47], v[11:12]
                                        ; implicit-def: $vgpr1_vgpr2
	s_and_saveexec_b64 s[2:3], vcc
	s_xor_b64 s[8:9], exec, s[2:3]
	s_cbranch_execz .LBB19_105
; %bb.90:                               ;   in Loop: Header=BB19_35 Depth=2
	v_and_b32_e32 v11, 0x7fffffff, v30
	v_cmp_gt_u64_e32 vcc, s[48:49], v[11:12]
	v_and_b32_sdwa v17, v30, s87 dst_sel:DWORD dst_unused:UNUSED_PAD src0_sel:BYTE_3 src1_sel:DWORD
                                        ; implicit-def: $vgpr1_vgpr2
	s_and_saveexec_b64 s[2:3], vcc
	s_xor_b64 s[10:11], exec, s[2:3]
	s_cbranch_execz .LBB19_102
; %bb.91:                               ;   in Loop: Header=BB19_35 Depth=2
	v_mov_b32_e32 v1, 0
	v_cmp_ne_u32_e32 vcc, 0, v30
	v_mov_b32_e32 v2, 0
	s_and_saveexec_b64 s[12:13], vcc
	s_cbranch_execz .LBB19_101
; %bb.92:                               ;   in Loop: Header=BB19_35 Depth=2
	v_bfe_u32 v32, v30, 23, 8
	v_sub_u32_e32 v1, 0x79, v32
	v_cmp_gt_u32_e32 vcc, s88, v32
	v_cndmask_b32_e32 v1, 0, v1, vcc
	v_cmp_eq_u32_e32 vcc, 0, v32
	v_cndmask_b32_e32 v33, v1, v49, vcc
	v_and_b32_e32 v11, 0x7fffff, v30
	v_add_u32_e32 v1, 20, v33
	v_or_b32_e32 v30, 0x800000, v11
	v_lshlrev_b64 v[1:2], v1, -1
	v_cndmask_b32_e32 v11, v30, v11, vcc
	v_bfi_b32 v30, v1, 0, v11
	v_add_u32_e32 v1, 19, v33
	v_bfi_b32 v31, v2, 0, 0
	v_lshlrev_b64 v[34:35], v1, 1
	v_lshrrev_b64 v[1:2], v33, v[11:12]
	v_cmp_eq_u64_e64 s[2:3], v[30:31], v[34:35]
	v_mov_b32_e32 v31, v2
	v_mov_b32_e32 v30, v1
	s_and_saveexec_b64 s[14:15], s[2:3]
; %bb.93:                               ;   in Loop: Header=BB19_35 Depth=2
	v_bfe_u32 v2, v1, 20, 1
	v_add_co_u32_e64 v2, s[2:3], v1, v2
	v_add_co_u32_e64 v30, s[2:3], -1, v2
; %bb.94:                               ;   in Loop: Header=BB19_35 Depth=2
	s_or_b64 exec, exec, s[14:15]
	v_add_u32_e32 v2, 0xffffff81, v32
	v_cndmask_b32_e32 v2, v2, v50, vcc
	v_lshrrev_b32_e32 v11, 23, v1
	v_add3_u32 v33, v33, v2, v11
	v_add_u32_e32 v31, 6, v33
	v_and_b32_e32 v2, 0xfffff, v30
	v_add_u32_e32 v11, v2, v1
	v_cmp_ne_u32_e32 vcc, 0, v31
                                        ; implicit-def: $vgpr1_vgpr2
                                        ; implicit-def: $vgpr32
	s_and_saveexec_b64 s[2:3], vcc
	s_xor_b64 s[2:3], exec, s[2:3]
; %bb.95:                               ;   in Loop: Header=BB19_35 Depth=2
	v_cmp_lt_u64_e32 vcc, s[50:51], v[11:12]
	v_add_u32_e32 v1, 7, v33
	v_cndmask_b32_e32 v32, v31, v1, vcc
	v_cndmask_b32_e64 v1, 0, 1, vcc
	v_lshrrev_b64 v[1:2], v1, v[11:12]
; %bb.96:                               ;   in Loop: Header=BB19_35 Depth=2
	s_andn2_saveexec_b64 s[2:3], s[2:3]
; %bb.97:                               ;   in Loop: Header=BB19_35 Depth=2
	v_mov_b32_e32 v1, v11
	v_bfe_u32 v32, v11, 23, 1
	v_mov_b32_e32 v2, v12
; %bb.98:                               ;   in Loop: Header=BB19_35 Depth=2
	s_or_b64 exec, exec, s[2:3]
	v_lshrrev_b64 v[1:2], 20, v[1:2]
	v_cmp_gt_i32_e32 vcc, 16, v32
	v_cndmask_b32_e32 v31, 0, v2, vcc
	v_cndmask_b32_e32 v30, 7, v1, vcc
	v_cmp_ne_u64_e32 vcc, 0, v[30:31]
	v_cmp_ne_u32_e64 s[2:3], 0, v32
	s_or_b64 s[2:3], s[2:3], vcc
	v_mov_b32_e32 v1, v17
	v_mov_b32_e32 v2, v18
	s_and_saveexec_b64 s[14:15], s[2:3]
	s_xor_b64 s[2:3], exec, s[14:15]
; %bb.99:                               ;   in Loop: Header=BB19_35 Depth=2
	v_min_i32_e32 v1, 15, v32
	v_lshl_or_b32 v1, v1, 3, v17
	v_and_or_b32 v1, v30, 7, v1
; %bb.100:                              ;   in Loop: Header=BB19_35 Depth=2
	s_andn2_saveexec_b64 s[2:3], s[2:3]
	s_or_b64 exec, exec, s[2:3]
.LBB19_101:                             ;   in Loop: Header=BB19_35 Depth=2
	s_or_b64 exec, exec, s[12:13]
                                        ; implicit-def: $vgpr17
.LBB19_102:                             ;   in Loop: Header=BB19_35 Depth=2
	s_andn2_saveexec_b64 s[2:3], s[10:11]
; %bb.103:                              ;   in Loop: Header=BB19_35 Depth=2
	v_or_b32_e32 v1, 0x7e, v17
; %bb.104:                              ;   in Loop: Header=BB19_35 Depth=2
	s_or_b64 exec, exec, s[2:3]
                                        ; implicit-def: $vgpr30
.LBB19_105:                             ;   in Loop: Header=BB19_35 Depth=2
	s_andn2_saveexec_b64 s[2:3], s[8:9]
; %bb.106:                              ;   in Loop: Header=BB19_35 Depth=2
	v_or_b32_sdwa v1, v30, s91 dst_sel:DWORD dst_unused:UNUSED_PAD src0_sel:BYTE_3 src1_sel:DWORD
; %bb.107:                              ;   in Loop: Header=BB19_35 Depth=2
	s_or_b64 exec, exec, s[2:3]
	v_lshlrev_b32_e32 v2, 16, v3
	v_div_scale_f32 v11, s[2:3], s71, s71, v2
	v_div_scale_f32 v17, vcc, v2, s71, v2
	v_rcp_f32_e32 v30, v11
	v_fma_f32 v31, -v11, v30, 1.0
	v_fmac_f32_e32 v30, v31, v30
	v_mul_f32_e32 v31, v17, v30
	v_fma_f32 v32, -v11, v31, v17
	v_fmac_f32_e32 v31, v32, v30
	v_fma_f32 v11, -v11, v31, v17
	v_div_fmas_f32 v11, v11, v30, v31
                                        ; implicit-def: $vgpr30_vgpr31
	v_div_fixup_f32 v17, v11, s71, v2
	v_and_b32_e32 v11, 0x7f800000, v17
	v_cmp_ne_u64_e32 vcc, s[46:47], v[11:12]
	s_and_saveexec_b64 s[2:3], vcc
	s_xor_b64 s[8:9], exec, s[2:3]
	s_cbranch_execz .LBB19_123
; %bb.108:                              ;   in Loop: Header=BB19_35 Depth=2
	v_and_b32_e32 v11, 0x7fffffff, v17
	v_cmp_gt_u64_e32 vcc, s[48:49], v[11:12]
	v_and_b32_sdwa v2, v17, s87 dst_sel:DWORD dst_unused:UNUSED_PAD src0_sel:BYTE_3 src1_sel:DWORD
                                        ; implicit-def: $vgpr30_vgpr31
	s_and_saveexec_b64 s[2:3], vcc
	s_xor_b64 s[10:11], exec, s[2:3]
	s_cbranch_execz .LBB19_120
; %bb.109:                              ;   in Loop: Header=BB19_35 Depth=2
	v_mov_b32_e32 v30, 0
	v_cmp_ne_u32_e32 vcc, 0, v17
	v_mov_b32_e32 v31, 0
	s_and_saveexec_b64 s[12:13], vcc
	s_cbranch_execz .LBB19_119
; %bb.110:                              ;   in Loop: Header=BB19_35 Depth=2
	v_and_b32_e32 v11, 0x7fffff, v17
	v_bfe_u32 v17, v17, 23, 8
	v_sub_u32_e32 v30, 0x79, v17
	v_cmp_gt_u32_e32 vcc, s88, v17
	v_cndmask_b32_e32 v30, 0, v30, vcc
	v_cmp_eq_u32_e32 vcc, 0, v17
	v_cndmask_b32_e32 v33, v30, v49, vcc
	v_add_u32_e32 v30, 20, v33
	v_or_b32_e32 v32, 0x800000, v11
	v_lshlrev_b64 v[30:31], v30, -1
	v_cndmask_b32_e32 v11, v32, v11, vcc
	v_bfi_b32 v34, v30, 0, v11
	v_add_u32_e32 v30, 19, v33
	v_bfi_b32 v35, v31, 0, 0
	v_lshlrev_b64 v[38:39], v30, 1
	v_lshrrev_b64 v[30:31], v33, v[11:12]
	v_cmp_eq_u64_e64 s[2:3], v[34:35], v[38:39]
	v_mov_b32_e32 v32, v31
	v_mov_b32_e32 v31, v30
	s_and_saveexec_b64 s[14:15], s[2:3]
; %bb.111:                              ;   in Loop: Header=BB19_35 Depth=2
	v_bfe_u32 v11, v30, 20, 1
	v_add_co_u32_e64 v11, s[2:3], v30, v11
	v_add_co_u32_e64 v31, s[2:3], -1, v11
; %bb.112:                              ;   in Loop: Header=BB19_35 Depth=2
	s_or_b64 exec, exec, s[14:15]
	v_add_u32_e32 v11, 0xffffff81, v17
	v_cndmask_b32_e32 v11, v11, v50, vcc
	v_lshrrev_b32_e32 v17, 23, v30
	v_add3_u32 v33, v33, v11, v17
	v_add_u32_e32 v32, 6, v33
	v_and_b32_e32 v11, 0xfffff, v31
	v_add_u32_e32 v11, v11, v30
	v_cmp_ne_u32_e32 vcc, 0, v32
                                        ; implicit-def: $vgpr30_vgpr31
                                        ; implicit-def: $vgpr17
	s_and_saveexec_b64 s[2:3], vcc
	s_xor_b64 s[2:3], exec, s[2:3]
; %bb.113:                              ;   in Loop: Header=BB19_35 Depth=2
	v_cmp_lt_u64_e32 vcc, s[50:51], v[11:12]
	v_add_u32_e32 v17, 7, v33
	v_cndmask_b32_e64 v30, 0, 1, vcc
	v_lshrrev_b64 v[30:31], v30, v[11:12]
	v_cndmask_b32_e32 v17, v32, v17, vcc
; %bb.114:                              ;   in Loop: Header=BB19_35 Depth=2
	s_andn2_saveexec_b64 s[2:3], s[2:3]
; %bb.115:                              ;   in Loop: Header=BB19_35 Depth=2
	v_mov_b32_e32 v31, v12
	v_bfe_u32 v17, v11, 23, 1
	v_mov_b32_e32 v30, v11
; %bb.116:                              ;   in Loop: Header=BB19_35 Depth=2
	s_or_b64 exec, exec, s[2:3]
	v_lshrrev_b64 v[30:31], 20, v[30:31]
	v_cmp_gt_i32_e32 vcc, 16, v17
	v_cndmask_b32_e32 v33, 0, v31, vcc
	v_cndmask_b32_e32 v32, 7, v30, vcc
	v_cmp_ne_u64_e32 vcc, 0, v[32:33]
	v_cmp_ne_u32_e64 s[2:3], 0, v17
	v_mov_b32_e32 v31, v3
	s_or_b64 s[2:3], s[2:3], vcc
	v_mov_b32_e32 v30, v2
	s_and_saveexec_b64 s[14:15], s[2:3]
	s_xor_b64 s[2:3], exec, s[14:15]
; %bb.117:                              ;   in Loop: Header=BB19_35 Depth=2
	v_min_i32_e32 v11, 15, v17
	v_lshl_or_b32 v2, v11, 3, v2
	v_and_or_b32 v30, v32, 7, v2
; %bb.118:                              ;   in Loop: Header=BB19_35 Depth=2
	s_andn2_saveexec_b64 s[2:3], s[2:3]
	s_or_b64 exec, exec, s[2:3]
.LBB19_119:                             ;   in Loop: Header=BB19_35 Depth=2
	s_or_b64 exec, exec, s[12:13]
                                        ; implicit-def: $vgpr2
.LBB19_120:                             ;   in Loop: Header=BB19_35 Depth=2
	s_andn2_saveexec_b64 s[2:3], s[10:11]
; %bb.121:                              ;   in Loop: Header=BB19_35 Depth=2
	v_or_b32_e32 v30, 0x7e, v2
; %bb.122:                              ;   in Loop: Header=BB19_35 Depth=2
	s_or_b64 exec, exec, s[2:3]
                                        ; implicit-def: $vgpr17
.LBB19_123:                             ;   in Loop: Header=BB19_35 Depth=2
	s_andn2_saveexec_b64 s[2:3], s[8:9]
; %bb.124:                              ;   in Loop: Header=BB19_35 Depth=2
	v_or_b32_sdwa v30, v17, s91 dst_sel:DWORD dst_unused:UNUSED_PAD src0_sel:BYTE_3 src1_sel:DWORD
; %bb.125:                              ;   in Loop: Header=BB19_35 Depth=2
	s_or_b64 exec, exec, s[2:3]
	v_and_b32_e32 v2, 0xffff0000, v3
	v_div_scale_f32 v3, s[2:3], s71, s71, v2
	v_div_scale_f32 v11, vcc, v2, s71, v2
	v_rcp_f32_e32 v17, v3
	v_fma_f32 v31, -v3, v17, 1.0
	v_fmac_f32_e32 v17, v31, v17
	v_mul_f32_e32 v31, v11, v17
	v_fma_f32 v32, -v3, v31, v11
	v_fmac_f32_e32 v31, v32, v17
	v_fma_f32 v3, -v3, v31, v11
	v_div_fmas_f32 v3, v3, v17, v31
	v_div_fixup_f32 v31, v3, s71, v2
	v_and_b32_e32 v11, 0x7f800000, v31
	v_cmp_ne_u64_e32 vcc, s[46:47], v[11:12]
                                        ; implicit-def: $vgpr2_vgpr3
	s_and_saveexec_b64 s[2:3], vcc
	s_xor_b64 s[8:9], exec, s[2:3]
	s_cbranch_execz .LBB19_141
; %bb.126:                              ;   in Loop: Header=BB19_35 Depth=2
	v_and_b32_e32 v11, 0x7fffffff, v31
	v_cmp_gt_u64_e32 vcc, s[48:49], v[11:12]
	v_and_b32_sdwa v17, v31, s87 dst_sel:DWORD dst_unused:UNUSED_PAD src0_sel:BYTE_3 src1_sel:DWORD
                                        ; implicit-def: $vgpr2_vgpr3
	s_and_saveexec_b64 s[2:3], vcc
	s_xor_b64 s[10:11], exec, s[2:3]
	s_cbranch_execz .LBB19_138
; %bb.127:                              ;   in Loop: Header=BB19_35 Depth=2
	v_mov_b32_e32 v2, 0
	v_cmp_ne_u32_e32 vcc, 0, v31
	v_mov_b32_e32 v3, 0
	s_and_saveexec_b64 s[12:13], vcc
	s_cbranch_execz .LBB19_137
; %bb.128:                              ;   in Loop: Header=BB19_35 Depth=2
	v_bfe_u32 v33, v31, 23, 8
	v_sub_u32_e32 v2, 0x79, v33
	v_cmp_gt_u32_e32 vcc, s88, v33
	v_cndmask_b32_e32 v2, 0, v2, vcc
	v_cmp_eq_u32_e32 vcc, 0, v33
	v_cndmask_b32_e32 v34, v2, v49, vcc
	v_and_b32_e32 v11, 0x7fffff, v31
	v_add_u32_e32 v2, 20, v34
	v_or_b32_e32 v31, 0x800000, v11
	v_lshlrev_b64 v[2:3], v2, -1
	v_cndmask_b32_e32 v11, v31, v11, vcc
	v_bfi_b32 v31, v2, 0, v11
	v_add_u32_e32 v2, 19, v34
	v_bfi_b32 v32, v3, 0, 0
	v_lshlrev_b64 v[38:39], v2, 1
	v_lshrrev_b64 v[2:3], v34, v[11:12]
	v_cmp_eq_u64_e64 s[2:3], v[31:32], v[38:39]
	v_mov_b32_e32 v32, v3
	v_mov_b32_e32 v31, v2
	s_and_saveexec_b64 s[14:15], s[2:3]
; %bb.129:                              ;   in Loop: Header=BB19_35 Depth=2
	v_bfe_u32 v3, v2, 20, 1
	v_add_co_u32_e64 v3, s[2:3], v2, v3
	v_add_co_u32_e64 v31, s[2:3], -1, v3
; %bb.130:                              ;   in Loop: Header=BB19_35 Depth=2
	s_or_b64 exec, exec, s[14:15]
	v_add_u32_e32 v3, 0xffffff81, v33
	v_cndmask_b32_e32 v3, v3, v50, vcc
	v_lshrrev_b32_e32 v11, 23, v2
	v_add3_u32 v34, v34, v3, v11
	v_add_u32_e32 v32, 6, v34
	v_and_b32_e32 v3, 0xfffff, v31
	v_add_u32_e32 v11, v3, v2
	v_cmp_ne_u32_e32 vcc, 0, v32
                                        ; implicit-def: $vgpr2_vgpr3
                                        ; implicit-def: $vgpr33
	s_and_saveexec_b64 s[2:3], vcc
	s_xor_b64 s[2:3], exec, s[2:3]
; %bb.131:                              ;   in Loop: Header=BB19_35 Depth=2
	v_cmp_lt_u64_e32 vcc, s[50:51], v[11:12]
	v_add_u32_e32 v2, 7, v34
	v_cndmask_b32_e32 v33, v32, v2, vcc
	v_cndmask_b32_e64 v2, 0, 1, vcc
	v_lshrrev_b64 v[2:3], v2, v[11:12]
; %bb.132:                              ;   in Loop: Header=BB19_35 Depth=2
	s_andn2_saveexec_b64 s[2:3], s[2:3]
; %bb.133:                              ;   in Loop: Header=BB19_35 Depth=2
	v_mov_b32_e32 v2, v11
	v_bfe_u32 v33, v11, 23, 1
	v_mov_b32_e32 v3, v12
; %bb.134:                              ;   in Loop: Header=BB19_35 Depth=2
	s_or_b64 exec, exec, s[2:3]
	v_lshrrev_b64 v[2:3], 20, v[2:3]
	v_cmp_gt_i32_e32 vcc, 16, v33
	v_cndmask_b32_e32 v32, 0, v3, vcc
	v_cndmask_b32_e32 v31, 7, v2, vcc
	v_cmp_ne_u64_e32 vcc, 0, v[31:32]
	v_cmp_ne_u32_e64 s[2:3], 0, v33
	s_or_b64 s[2:3], s[2:3], vcc
	v_mov_b32_e32 v2, v17
	v_mov_b32_e32 v3, v18
	s_and_saveexec_b64 s[14:15], s[2:3]
	s_xor_b64 s[2:3], exec, s[14:15]
; %bb.135:                              ;   in Loop: Header=BB19_35 Depth=2
	v_min_i32_e32 v2, 15, v33
	v_lshl_or_b32 v2, v2, 3, v17
	v_and_or_b32 v2, v31, 7, v2
; %bb.136:                              ;   in Loop: Header=BB19_35 Depth=2
	s_andn2_saveexec_b64 s[2:3], s[2:3]
	s_or_b64 exec, exec, s[2:3]
.LBB19_137:                             ;   in Loop: Header=BB19_35 Depth=2
	s_or_b64 exec, exec, s[12:13]
                                        ; implicit-def: $vgpr17
.LBB19_138:                             ;   in Loop: Header=BB19_35 Depth=2
	s_andn2_saveexec_b64 s[2:3], s[10:11]
; %bb.139:                              ;   in Loop: Header=BB19_35 Depth=2
	v_or_b32_e32 v2, 0x7e, v17
; %bb.140:                              ;   in Loop: Header=BB19_35 Depth=2
	s_or_b64 exec, exec, s[2:3]
                                        ; implicit-def: $vgpr31
.LBB19_141:                             ;   in Loop: Header=BB19_35 Depth=2
	s_andn2_saveexec_b64 s[2:3], s[8:9]
; %bb.142:                              ;   in Loop: Header=BB19_35 Depth=2
	v_or_b32_sdwa v2, v31, s91 dst_sel:DWORD dst_unused:UNUSED_PAD src0_sel:BYTE_3 src1_sel:DWORD
; %bb.143:                              ;   in Loop: Header=BB19_35 Depth=2
	s_or_b64 exec, exec, s[2:3]
	v_lshlrev_b32_e32 v3, 16, v4
	v_div_scale_f32 v11, s[2:3], s71, s71, v3
	v_div_scale_f32 v17, vcc, v3, s71, v3
	v_rcp_f32_e32 v31, v11
	v_fma_f32 v32, -v11, v31, 1.0
	v_fmac_f32_e32 v31, v32, v31
	v_mul_f32_e32 v32, v17, v31
	v_fma_f32 v33, -v11, v32, v17
	v_fmac_f32_e32 v32, v33, v31
	v_fma_f32 v11, -v11, v32, v17
	v_div_fmas_f32 v11, v11, v31, v32
                                        ; implicit-def: $vgpr31_vgpr32
	v_div_fixup_f32 v17, v11, s71, v3
	v_and_b32_e32 v11, 0x7f800000, v17
	v_cmp_ne_u64_e32 vcc, s[46:47], v[11:12]
	s_and_saveexec_b64 s[2:3], vcc
	s_xor_b64 s[8:9], exec, s[2:3]
	s_cbranch_execz .LBB19_159
; %bb.144:                              ;   in Loop: Header=BB19_35 Depth=2
	v_and_b32_e32 v11, 0x7fffffff, v17
	v_cmp_gt_u64_e32 vcc, s[48:49], v[11:12]
	v_and_b32_sdwa v3, v17, s87 dst_sel:DWORD dst_unused:UNUSED_PAD src0_sel:BYTE_3 src1_sel:DWORD
                                        ; implicit-def: $vgpr31_vgpr32
	s_and_saveexec_b64 s[2:3], vcc
	s_xor_b64 s[10:11], exec, s[2:3]
	s_cbranch_execz .LBB19_156
; %bb.145:                              ;   in Loop: Header=BB19_35 Depth=2
	v_mov_b32_e32 v31, 0
	v_cmp_ne_u32_e32 vcc, 0, v17
	v_mov_b32_e32 v32, 0
	s_and_saveexec_b64 s[12:13], vcc
	s_cbranch_execz .LBB19_155
; %bb.146:                              ;   in Loop: Header=BB19_35 Depth=2
	v_and_b32_e32 v11, 0x7fffff, v17
	v_bfe_u32 v17, v17, 23, 8
	v_sub_u32_e32 v31, 0x79, v17
	v_cmp_gt_u32_e32 vcc, s88, v17
	v_cndmask_b32_e32 v31, 0, v31, vcc
	v_cmp_eq_u32_e32 vcc, 0, v17
	v_cndmask_b32_e32 v34, v31, v49, vcc
	v_add_u32_e32 v31, 20, v34
	v_or_b32_e32 v33, 0x800000, v11
	v_lshlrev_b64 v[31:32], v31, -1
	v_cndmask_b32_e32 v11, v33, v11, vcc
	v_bfi_b32 v38, v31, 0, v11
	v_add_u32_e32 v31, 19, v34
	v_bfi_b32 v39, v32, 0, 0
	v_lshlrev_b64 v[40:41], v31, 1
	v_lshrrev_b64 v[31:32], v34, v[11:12]
	v_cmp_eq_u64_e64 s[2:3], v[38:39], v[40:41]
	v_mov_b32_e32 v33, v32
	v_mov_b32_e32 v32, v31
	s_and_saveexec_b64 s[14:15], s[2:3]
; %bb.147:                              ;   in Loop: Header=BB19_35 Depth=2
	v_bfe_u32 v11, v31, 20, 1
	v_add_co_u32_e64 v11, s[2:3], v31, v11
	v_add_co_u32_e64 v32, s[2:3], -1, v11
; %bb.148:                              ;   in Loop: Header=BB19_35 Depth=2
	s_or_b64 exec, exec, s[14:15]
	v_add_u32_e32 v11, 0xffffff81, v17
	v_cndmask_b32_e32 v11, v11, v50, vcc
	v_lshrrev_b32_e32 v17, 23, v31
	v_add3_u32 v34, v34, v11, v17
	v_add_u32_e32 v33, 6, v34
	v_and_b32_e32 v11, 0xfffff, v32
	v_add_u32_e32 v11, v11, v31
	v_cmp_ne_u32_e32 vcc, 0, v33
                                        ; implicit-def: $vgpr31_vgpr32
                                        ; implicit-def: $vgpr17
	s_and_saveexec_b64 s[2:3], vcc
	s_xor_b64 s[2:3], exec, s[2:3]
; %bb.149:                              ;   in Loop: Header=BB19_35 Depth=2
	v_cmp_lt_u64_e32 vcc, s[50:51], v[11:12]
	v_add_u32_e32 v17, 7, v34
	v_cndmask_b32_e64 v31, 0, 1, vcc
	v_lshrrev_b64 v[31:32], v31, v[11:12]
	v_cndmask_b32_e32 v17, v33, v17, vcc
; %bb.150:                              ;   in Loop: Header=BB19_35 Depth=2
	s_andn2_saveexec_b64 s[2:3], s[2:3]
; %bb.151:                              ;   in Loop: Header=BB19_35 Depth=2
	v_mov_b32_e32 v32, v12
	v_bfe_u32 v17, v11, 23, 1
	v_mov_b32_e32 v31, v11
; %bb.152:                              ;   in Loop: Header=BB19_35 Depth=2
	s_or_b64 exec, exec, s[2:3]
	v_lshrrev_b64 v[31:32], 20, v[31:32]
	v_cmp_gt_i32_e32 vcc, 16, v17
	v_cndmask_b32_e32 v34, 0, v32, vcc
	v_cndmask_b32_e32 v33, 7, v31, vcc
	v_cmp_ne_u64_e32 vcc, 0, v[33:34]
	v_cmp_ne_u32_e64 s[2:3], 0, v17
	v_mov_b32_e32 v32, v4
	s_or_b64 s[2:3], s[2:3], vcc
	v_mov_b32_e32 v31, v3
	s_and_saveexec_b64 s[14:15], s[2:3]
	s_xor_b64 s[2:3], exec, s[14:15]
; %bb.153:                              ;   in Loop: Header=BB19_35 Depth=2
	v_min_i32_e32 v11, 15, v17
	v_lshl_or_b32 v3, v11, 3, v3
	v_and_or_b32 v31, v33, 7, v3
; %bb.154:                              ;   in Loop: Header=BB19_35 Depth=2
	s_andn2_saveexec_b64 s[2:3], s[2:3]
	s_or_b64 exec, exec, s[2:3]
.LBB19_155:                             ;   in Loop: Header=BB19_35 Depth=2
	s_or_b64 exec, exec, s[12:13]
                                        ; implicit-def: $vgpr3
.LBB19_156:                             ;   in Loop: Header=BB19_35 Depth=2
	s_andn2_saveexec_b64 s[2:3], s[10:11]
; %bb.157:                              ;   in Loop: Header=BB19_35 Depth=2
	v_or_b32_e32 v31, 0x7e, v3
; %bb.158:                              ;   in Loop: Header=BB19_35 Depth=2
	s_or_b64 exec, exec, s[2:3]
                                        ; implicit-def: $vgpr17
.LBB19_159:                             ;   in Loop: Header=BB19_35 Depth=2
	s_andn2_saveexec_b64 s[2:3], s[8:9]
; %bb.160:                              ;   in Loop: Header=BB19_35 Depth=2
	v_or_b32_sdwa v31, v17, s91 dst_sel:DWORD dst_unused:UNUSED_PAD src0_sel:BYTE_3 src1_sel:DWORD
; %bb.161:                              ;   in Loop: Header=BB19_35 Depth=2
	s_or_b64 exec, exec, s[2:3]
	v_and_b32_e32 v3, 0xffff0000, v4
	v_div_scale_f32 v4, s[2:3], s71, s71, v3
	v_div_scale_f32 v11, vcc, v3, s71, v3
	v_rcp_f32_e32 v17, v4
	v_fma_f32 v32, -v4, v17, 1.0
	v_fmac_f32_e32 v17, v32, v17
	v_mul_f32_e32 v32, v11, v17
	v_fma_f32 v33, -v4, v32, v11
	v_fmac_f32_e32 v32, v33, v17
	v_fma_f32 v4, -v4, v32, v11
	v_div_fmas_f32 v4, v4, v17, v32
                                        ; implicit-def: $vgpr32_vgpr33
	v_div_fixup_f32 v4, v4, s71, v3
	v_and_b32_e32 v11, 0x7f800000, v4
	v_cmp_ne_u64_e32 vcc, s[46:47], v[11:12]
	s_and_saveexec_b64 s[2:3], vcc
	s_xor_b64 s[8:9], exec, s[2:3]
	s_cbranch_execz .LBB19_177
; %bb.162:                              ;   in Loop: Header=BB19_35 Depth=2
	v_and_b32_e32 v11, 0x7fffffff, v4
	v_cmp_gt_u64_e32 vcc, s[48:49], v[11:12]
	v_and_b32_sdwa v3, v4, s87 dst_sel:DWORD dst_unused:UNUSED_PAD src0_sel:BYTE_3 src1_sel:DWORD
                                        ; implicit-def: $vgpr32_vgpr33
	s_and_saveexec_b64 s[2:3], vcc
	s_xor_b64 s[10:11], exec, s[2:3]
	s_cbranch_execz .LBB19_174
; %bb.163:                              ;   in Loop: Header=BB19_35 Depth=2
	v_mov_b32_e32 v32, 0
	v_cmp_ne_u32_e32 vcc, 0, v4
	v_mov_b32_e32 v33, 0
	s_and_saveexec_b64 s[12:13], vcc
	s_cbranch_execz .LBB19_173
; %bb.164:                              ;   in Loop: Header=BB19_35 Depth=2
	v_and_b32_e32 v11, 0x7fffff, v4
	v_bfe_u32 v4, v4, 23, 8
	v_sub_u32_e32 v17, 0x79, v4
	v_cmp_gt_u32_e32 vcc, s88, v4
	v_cndmask_b32_e32 v17, 0, v17, vcc
	v_cmp_eq_u32_e32 vcc, 0, v4
	v_cndmask_b32_e32 v17, v17, v49, vcc
	v_add_u32_e32 v32, 20, v17
	v_or_b32_e32 v34, 0x800000, v11
	v_lshlrev_b64 v[32:33], v32, -1
	v_cndmask_b32_e32 v11, v34, v11, vcc
	v_bfi_b32 v34, v32, 0, v11
	v_add_u32_e32 v32, 19, v17
	v_bfi_b32 v35, v33, 0, 0
	v_lshlrev_b64 v[38:39], v32, 1
	v_lshrrev_b64 v[32:33], v17, v[11:12]
	v_cmp_eq_u64_e64 s[2:3], v[34:35], v[38:39]
	v_mov_b32_e32 v34, v33
	v_mov_b32_e32 v33, v32
	s_and_saveexec_b64 s[14:15], s[2:3]
; %bb.165:                              ;   in Loop: Header=BB19_35 Depth=2
	v_bfe_u32 v11, v32, 20, 1
	v_add_co_u32_e64 v11, s[2:3], v32, v11
	v_add_co_u32_e64 v33, s[2:3], -1, v11
; %bb.166:                              ;   in Loop: Header=BB19_35 Depth=2
	s_or_b64 exec, exec, s[14:15]
	v_add_u32_e32 v4, 0xffffff81, v4
	v_cndmask_b32_e32 v4, v4, v50, vcc
	v_lshrrev_b32_e32 v11, 23, v32
	v_add3_u32 v34, v17, v4, v11
	v_add_u32_e32 v17, 6, v34
	v_and_b32_e32 v4, 0xfffff, v33
	v_add_u32_e32 v11, v4, v32
	v_cmp_ne_u32_e32 vcc, 0, v17
                                        ; implicit-def: $vgpr32_vgpr33
                                        ; implicit-def: $vgpr4
	s_and_saveexec_b64 s[2:3], vcc
	s_xor_b64 s[2:3], exec, s[2:3]
; %bb.167:                              ;   in Loop: Header=BB19_35 Depth=2
	v_cmp_lt_u64_e32 vcc, s[50:51], v[11:12]
	v_add_u32_e32 v4, 7, v34
	v_cndmask_b32_e32 v4, v17, v4, vcc
	v_cndmask_b32_e64 v17, 0, 1, vcc
	v_lshrrev_b64 v[32:33], v17, v[11:12]
; %bb.168:                              ;   in Loop: Header=BB19_35 Depth=2
	s_andn2_saveexec_b64 s[2:3], s[2:3]
; %bb.169:                              ;   in Loop: Header=BB19_35 Depth=2
	v_mov_b32_e32 v33, v12
	v_bfe_u32 v4, v11, 23, 1
	v_mov_b32_e32 v32, v11
; %bb.170:                              ;   in Loop: Header=BB19_35 Depth=2
	s_or_b64 exec, exec, s[2:3]
	v_lshrrev_b64 v[32:33], 20, v[32:33]
	v_cmp_gt_i32_e32 vcc, 16, v4
	v_cndmask_b32_e32 v35, 0, v33, vcc
	v_cndmask_b32_e32 v34, 7, v32, vcc
	v_cmp_ne_u64_e32 vcc, 0, v[34:35]
	v_cmp_ne_u32_e64 s[2:3], 0, v4
	v_mov_b32_e32 v33, v4
	s_or_b64 s[2:3], s[2:3], vcc
	v_mov_b32_e32 v32, v3
	s_and_saveexec_b64 s[14:15], s[2:3]
	s_xor_b64 s[2:3], exec, s[14:15]
; %bb.171:                              ;   in Loop: Header=BB19_35 Depth=2
	v_min_i32_e32 v4, 15, v4
	v_lshl_or_b32 v3, v4, 3, v3
	v_and_or_b32 v32, v34, 7, v3
; %bb.172:                              ;   in Loop: Header=BB19_35 Depth=2
	s_andn2_saveexec_b64 s[2:3], s[2:3]
	s_or_b64 exec, exec, s[2:3]
.LBB19_173:                             ;   in Loop: Header=BB19_35 Depth=2
	s_or_b64 exec, exec, s[12:13]
                                        ; implicit-def: $vgpr3
.LBB19_174:                             ;   in Loop: Header=BB19_35 Depth=2
	s_andn2_saveexec_b64 s[2:3], s[10:11]
; %bb.175:                              ;   in Loop: Header=BB19_35 Depth=2
	v_or_b32_e32 v32, 0x7e, v3
; %bb.176:                              ;   in Loop: Header=BB19_35 Depth=2
	s_or_b64 exec, exec, s[2:3]
                                        ; implicit-def: $vgpr4
.LBB19_177:                             ;   in Loop: Header=BB19_35 Depth=2
	s_andn2_saveexec_b64 s[2:3], s[8:9]
	s_cbranch_execz .LBB19_34
; %bb.178:                              ;   in Loop: Header=BB19_35 Depth=2
	v_or_b32_sdwa v32, v4, s91 dst_sel:DWORD dst_unused:UNUSED_PAD src0_sel:BYTE_3 src1_sel:DWORD
	s_branch .LBB19_34
.LBB19_179:                             ;   in Loop: Header=BB19_9 Depth=1
	s_or_b64 exec, exec, s[4:5]
	v_lshlrev_b32_e32 v2, 3, v56
	v_add_u32_e32 v1, v2, v37
	v_cmp_lt_i32_e32 vcc, v1, v51
	s_and_saveexec_b64 s[56:57], vcc
	s_cbranch_execz .LBB19_207
; %bb.180:                              ;   in Loop: Header=BB19_9 Depth=1
	v_add_u32_e32 v3, v59, v2
	v_max_i32_e32 v3, v3, v51
	v_add_u32_e32 v3, v3, v62
	v_sub_u32_e32 v2, v3, v2
	v_cmp_lt_u32_e32 vcc, 31, v2
	s_mov_b64 s[2:3], -1
	s_and_saveexec_b64 s[58:59], vcc
	s_cbranch_execz .LBB19_184
; %bb.181:                              ;   in Loop: Header=BB19_9 Depth=1
	v_lshrrev_b32_e32 v2, 5, v2
	v_add_co_u32_e32 v10, vcc, v52, v22
	v_add_u32_e32 v4, 1, v2
	v_addc_co_u32_e32 v30, vcc, v53, v23, vcc
	v_add_u32_e32 v2, 32, v1
	v_add_co_u32_e32 v31, vcc, v54, v20
	v_and_b32_e32 v17, 0xffffffe, v4
	v_mov_b32_e32 v3, v2
	v_mov_b32_e32 v48, v46
	;; [unrolled: 1-line block ×4, first 2 shown]
	v_addc_co_u32_e32 v32, vcc, v55, v21, vcc
	s_mov_b64 s[60:61], 0
	v_mov_b32_e32 v33, v17
	v_mov_b32_e32 v2, v1
.LBB19_182:                             ;   Parent Loop BB19_9 Depth=1
                                        ; =>  This Inner Loop Header: Depth=2
	v_ashrrev_i32_e32 v35, 31, v2
	v_add_co_u32_e32 v24, vcc, v31, v2
	v_mov_b32_e32 v34, v2
	v_addc_co_u32_e32 v25, vcc, v32, v35, vcc
	v_ashrrev_i32_e32 v29, 31, v3
	v_add_co_u32_e32 v26, vcc, v31, v3
	v_lshlrev_b64 v[34:35], 1, v[34:35]
	v_mov_b32_e32 v28, v3
	v_addc_co_u32_e32 v27, vcc, v32, v29, vcc
	v_add_co_u32_e32 v34, vcc, v10, v34
	v_lshlrev_b64 v[28:29], 1, v[28:29]
	v_addc_co_u32_e32 v35, vcc, v30, v35, vcc
	v_add_co_u32_e32 v28, vcc, v10, v28
	v_addc_co_u32_e32 v29, vcc, v30, v29, vcc
	global_load_ushort v11, v[34:35], off
	s_nop 0
	global_load_ushort v28, v[28:29], off
	v_add_u32_e32 v33, -2, v33
	v_add_u32_e32 v3, 64, v3
	v_add_u32_e32 v2, 64, v2
	s_waitcnt vmcnt(1)
	v_lshlrev_b32_e32 v11, 16, v11
	s_waitcnt vmcnt(0)
	v_lshlrev_b32_e32 v28, 16, v28
	v_div_scale_f32 v29, s[2:3], s78, s78, v28
	v_rcp_f32_e32 v34, v29
	v_fma_f32 v35, -v29, v34, 1.0
	v_fmac_f32_e32 v34, v35, v34
	v_div_scale_f32 v35, vcc, v28, s78, v28
	v_mul_f32_e32 v38, v35, v34
	v_fma_f32 v39, -v29, v38, v35
	v_fmac_f32_e32 v38, v39, v34
	v_fma_f32 v29, -v29, v38, v35
	v_div_fmas_f32 v29, v29, v34, v38
	v_div_fixup_f32 v34, v29, s78, v28
	v_div_scale_f32 v28, s[2:3], s71, s71, v11
	v_cmp_ne_u32_e64 s[14:15], 0, v34
	v_and_b32_sdwa v52, v34, s87 dst_sel:DWORD dst_unused:UNUSED_PAD src0_sel:BYTE_3 src1_sel:DWORD
	v_cmp_eq_u32_e64 s[8:9], 0, v34
	v_rcp_f32_e32 v29, v28
	v_fma_f32 v35, -v28, v29, 1.0
	v_fmac_f32_e32 v29, v35, v29
	v_div_scale_f32 v35, vcc, v11, s71, v11
	v_mul_f32_e32 v38, v35, v29
	v_fma_f32 v39, -v28, v38, v35
	v_fmac_f32_e32 v38, v39, v29
	v_fma_f32 v28, -v28, v38, v35
	v_div_fmas_f32 v28, v28, v29, v38
	v_and_b32_e32 v39, 0x7f800000, v34
	v_cmp_ne_u32_e32 vcc, s86, v39
	v_div_fixup_f32 v35, v28, s71, v11
	v_lshrrev_b32_e32 v28, 23, v34
	v_and_b32_e32 v40, 0x7f800000, v35
	v_and_b32_e32 v39, 0x7fffffff, v35
	v_lshrrev_b32_e32 v38, 23, v35
	v_cmp_ne_u32_e64 s[2:3], s86, v40
	v_and_b32_e32 v40, 0x7fffffff, v34
	v_cmp_gt_u32_e64 s[6:7], s94, v39
	v_cmp_eq_u32_sdwa s[16:17], v28, v12 src0_sel:BYTE_0 src1_sel:DWORD
	v_add_u32_sdwa v39, v28, s90 dst_sel:DWORD dst_unused:UNUSED_PAD src0_sel:BYTE_0 src1_sel:DWORD
	v_cmp_lt_u32_sdwa s[22:23], v28, s88 src0_sel:BYTE_0 src1_sel:DWORD
	v_sub_u32_sdwa v28, s89, v28 dst_sel:DWORD dst_unused:UNUSED_PAD src0_sel:DWORD src1_sel:BYTE_0
	v_cmp_gt_u32_e64 s[4:5], s94, v40
	v_cmp_eq_u32_sdwa s[18:19], v38, v12 src0_sel:BYTE_0 src1_sel:DWORD
	v_add_u32_sdwa v40, v38, s90 dst_sel:DWORD dst_unused:UNUSED_PAD src0_sel:BYTE_0 src1_sel:DWORD
	v_cmp_lt_u32_sdwa s[20:21], v38, s88 src0_sel:BYTE_0 src1_sel:DWORD
	v_sub_u32_sdwa v38, s89, v38 dst_sel:DWORD dst_unused:UNUSED_PAD src0_sel:DWORD src1_sel:BYTE_0
	v_cndmask_b32_e64 v28, 0, v28, s[22:23]
	v_cndmask_b32_e64 v38, 0, v38, s[20:21]
	;; [unrolled: 1-line block ×3, first 2 shown]
	v_and_b32_e32 v11, 0x7fffff, v34
	v_and_b32_e32 v29, 0x7fffff, v35
	v_cndmask_b32_e64 v56, v38, v49, s[18:19]
	v_add_u32_e32 v38, 20, v57
	v_or_b32_e32 v41, 0x800000, v11
	v_or_b32_e32 v58, 0x800000, v29
	v_cndmask_b32_e64 v55, v39, v50, s[16:17]
	v_add_u32_e32 v39, 20, v56
	v_lshlrev_b64 v[60:61], v38, -1
	v_add_u32_e32 v38, 19, v57
	v_cndmask_b32_e64 v54, v40, v50, s[18:19]
	v_cndmask_b32_e64 v28, v41, v11, s[16:17]
	;; [unrolled: 1-line block ×3, first 2 shown]
	v_lshlrev_b64 v[58:59], v39, -1
	v_add_u32_e32 v40, 19, v56
	v_lshlrev_b64 v[38:39], v38, 1
	v_mov_b32_e32 v29, v12
	v_bfi_b32 v61, v61, 0, 0
	v_bfi_b32 v60, v60, 0, v28
	v_lshlrev_b64 v[40:41], v40, 1
	v_bfi_b32 v59, v59, 0, 0
	v_bfi_b32 v58, v58, 0, v11
	v_cmp_ne_u64_e64 s[18:19], v[60:61], v[38:39]
	v_lshrrev_b64 v[38:39], v56, v[11:12]
	v_lshrrev_b64 v[28:29], v57, v[28:29]
	v_cmp_ne_u64_e64 s[16:17], v[58:59], v[40:41]
	v_cmp_ne_u32_e64 s[12:13], 0, v35
	v_lshrrev_b32_e32 v11, 23, v38
	v_lshrrev_b32_e32 v29, 23, v28
	v_add3_u32 v55, v57, v55, v29
	v_add3_u32 v56, v56, v54, v11
	v_bfe_u32 v11, v28, 20, 1
	v_bfe_u32 v29, v38, 20, 1
	s_and_b64 s[18:19], s[14:15], s[18:19]
	s_and_b64 s[16:17], s[12:13], s[16:17]
	v_add3_u32 v29, v38, v29, -1
	v_add3_u32 v11, v28, v11, -1
	s_and_b64 s[16:17], s[16:17], s[6:7]
	s_and_b64 s[18:19], s[18:19], s[4:5]
	v_cndmask_b32_e64 v11, v11, v28, s[18:19]
	v_cndmask_b32_e64 v29, v29, v38, s[16:17]
	v_and_b32_e32 v11, 0xfffff, v11
	v_and_b32_e32 v29, 0xfffff, v29
	v_add_u32_e32 v28, v11, v28
	v_add_u32_e32 v11, v29, v38
	v_mov_b32_e32 v29, v12
	v_cmp_lt_u64_e64 s[22:23], s[50:51], v[28:29]
	v_add_u32_e32 v57, 6, v55
	v_cmp_lt_u64_e64 s[20:21], s[50:51], v[11:12]
	v_add_u32_e32 v39, 7, v55
	v_lshrrev_b32_e32 v40, 23, v28
	v_add_u32_e32 v54, 6, v56
	v_cmp_ne_u32_e64 s[16:17], 0, v57
	v_add_u32_e32 v38, 7, v56
	v_cndmask_b32_e64 v39, v57, v39, s[22:23]
	v_lshrrev_b32_e32 v41, 23, v11
	v_and_b32_e32 v40, 1, v40
	v_cmp_ne_u32_e64 s[18:19], 0, v54
	v_cndmask_b32_e64 v38, v54, v38, s[20:21]
	v_and_b32_e32 v41, 1, v41
	v_cndmask_b32_e64 v40, v40, v39, s[16:17]
	s_and_b64 s[16:17], s[16:17], s[22:23]
	v_cndmask_b32_e64 v41, v41, v38, s[18:19]
	s_and_b64 s[18:19], s[18:19], s[20:21]
	v_cndmask_b32_e64 v39, 0, 1, s[16:17]
	v_cndmask_b32_e64 v38, 0, 1, s[18:19]
	v_lshrrev_b64 v[28:29], v39, v[28:29]
	v_lshrrev_b64 v[38:39], v38, v[11:12]
	v_lshrrev_b32_e32 v11, 20, v28
	v_cmp_gt_i32_e64 s[16:17], 16, v40
	v_lshrrev_b32_e32 v29, 20, v38
	v_cndmask_b32_e64 v11, 7, v11, s[16:17]
	v_cmp_gt_i32_e64 s[16:17], 16, v41
	v_cndmask_b32_e64 v28, 7, v29, s[16:17]
	v_mov_b32_e32 v29, v12
	v_min_i32_e32 v38, 15, v40
	s_and_b64 s[36:37], s[2:3], s[6:7]
	s_and_b64 s[82:83], vcc, s[4:5]
	v_cmp_eq_u32_e64 s[16:17], 0, v40
	v_cmp_eq_u32_e64 s[18:19], 0, v41
	v_cmp_eq_u64_e64 s[20:21], 0, v[28:29]
	v_cmp_eq_u64_e64 s[22:23], 0, v[11:12]
	v_min_i32_e32 v29, 15, v41
	v_lshlrev_b32_e32 v38, 3, v38
	s_and_b64 s[14:15], s[82:83], s[14:15]
	s_and_b64 s[12:13], s[36:37], s[12:13]
	v_and_b32_sdwa v53, v35, s87 dst_sel:DWORD dst_unused:UNUSED_PAD src0_sel:BYTE_3 src1_sel:DWORD
	v_lshlrev_b32_e32 v29, 3, v29
	v_or_b32_e32 v38, v38, v52
	s_and_b64 s[18:19], s[12:13], s[18:19]
	s_and_b64 s[12:13], s[14:15], s[16:17]
	v_or_b32_e32 v29, v29, v53
	v_and_or_b32 v11, v11, 7, v38
	s_and_b64 s[12:13], s[12:13], s[22:23]
	v_cmp_eq_u32_e64 s[10:11], 0, v35
	v_and_or_b32 v28, v28, 7, v29
	s_and_b64 s[14:15], s[18:19], s[20:21]
	s_and_b64 s[8:9], s[82:83], s[8:9]
	v_cndmask_b32_e64 v11, v11, v52, s[12:13]
	v_or_b32_e32 v29, 0x7e, v52
	s_and_b64 s[10:11], s[36:37], s[10:11]
	v_cndmask_b32_e64 v28, v28, v53, s[14:15]
	v_cndmask_b32_e64 v11, v11, 0, s[8:9]
	v_or_b32_e32 v38, 0x7e, v53
	v_or_b32_sdwa v34, v34, s91 dst_sel:DWORD dst_unused:UNUSED_PAD src0_sel:BYTE_3 src1_sel:DWORD
	v_cndmask_b32_e64 v28, v28, 0, s[10:11]
	v_cndmask_b32_e64 v11, v29, v11, s[4:5]
	v_or_b32_sdwa v35, v35, s91 dst_sel:DWORD dst_unused:UNUSED_PAD src0_sel:BYTE_3 src1_sel:DWORD
	v_cndmask_b32_e64 v28, v38, v28, s[6:7]
	v_cndmask_b32_e32 v11, v34, v11, vcc
	v_cmp_eq_u32_e32 vcc, 0, v33
	v_cndmask_b32_e64 v28, v35, v28, s[2:3]
	s_or_b64 s[60:61], vcc, s[60:61]
	global_store_byte v[24:25], v28, off
	global_store_byte v[26:27], v11, off
	s_andn2_b64 exec, exec, s[60:61]
	s_cbranch_execnz .LBB19_182
; %bb.183:                              ;   in Loop: Header=BB19_9 Depth=1
	s_or_b64 exec, exec, s[60:61]
	v_mov_b32_e32 v59, v45
	v_mov_b32_e32 v45, v46
	;; [unrolled: 1-line block ×3, first 2 shown]
	buffer_load_dword v48, off, s[96:99], 0 ; 4-byte Folded Reload
	buffer_load_dword v60, off, s[96:99], 0 offset:4 ; 4-byte Folded Reload
	buffer_load_dword v61, off, s[96:99], 0 offset:8 ; 4-byte Folded Reload
	v_cmp_ne_u32_e32 vcc, v4, v17
	v_lshl_add_u32 v1, v17, 5, v1
	s_orn2_b64 s[2:3], vcc, exec
.LBB19_184:                             ;   in Loop: Header=BB19_9 Depth=1
	s_or_b64 exec, exec, s[58:59]
	s_and_b64 exec, exec, s[2:3]
	s_cbranch_execz .LBB19_207
; %bb.185:                              ;   in Loop: Header=BB19_9 Depth=1
	v_ashrrev_i32_e32 v2, 31, v1
	v_lshlrev_b64 v[3:4], 1, v[1:2]
	v_mov_b32_e32 v10, s73
	v_add_co_u32_e32 v3, vcc, v22, v3
	v_addc_co_u32_e32 v4, vcc, v23, v4, vcc
	v_add_co_u32_e32 v3, vcc, v3, v13
	v_addc_co_u32_e32 v4, vcc, v4, v14, vcc
	;; [unrolled: 2-line block ×5, first 2 shown]
	s_mov_b64 s[4:5], 0
	s_branch .LBB19_187
.LBB19_186:                             ;   in Loop: Header=BB19_187 Depth=2
	s_or_b64 exec, exec, s[2:3]
	v_add_co_u32_e32 v3, vcc, 64, v3
	v_add_u32_e32 v1, 32, v1
	v_addc_co_u32_e32 v4, vcc, 0, v4, vcc
	v_cmp_ge_i32_e32 vcc, v1, v51
	global_store_byte v[20:21], v11, off
	s_or_b64 s[4:5], vcc, s[4:5]
	v_add_co_u32_e32 v20, vcc, 32, v20
	v_addc_co_u32_e32 v21, vcc, 0, v21, vcc
	s_andn2_b64 exec, exec, s[4:5]
	s_cbranch_execz .LBB19_207
.LBB19_187:                             ;   Parent Loop BB19_9 Depth=1
                                        ; =>  This Inner Loop Header: Depth=2
	global_load_ushort v2, v[3:4], off
	s_waitcnt vmcnt(0)
	v_lshlrev_b32_e32 v2, 16, v2
	v_div_scale_f32 v10, s[2:3], s71, s71, v2
	v_div_scale_f32 v11, vcc, v2, s71, v2
	v_rcp_f32_e32 v17, v10
	v_fma_f32 v22, -v10, v17, 1.0
	v_fmac_f32_e32 v17, v22, v17
	v_mul_f32_e32 v22, v11, v17
	v_fma_f32 v23, -v10, v22, v11
	v_fmac_f32_e32 v22, v23, v17
	v_fma_f32 v10, -v10, v22, v11
	v_div_fmas_f32 v10, v10, v17, v22
	v_div_fixup_f32 v10, v10, s71, v2
	v_and_b32_e32 v11, 0x7f800000, v10
	v_cmp_ne_u64_e32 vcc, s[46:47], v[11:12]
                                        ; implicit-def: $vgpr11
	s_and_saveexec_b64 s[2:3], vcc
	s_xor_b64 s[6:7], exec, s[2:3]
	s_cbranch_execz .LBB19_205
; %bb.188:                              ;   in Loop: Header=BB19_187 Depth=2
	v_and_b32_e32 v11, 0x7fffffff, v10
	v_cmp_gt_u64_e32 vcc, s[48:49], v[11:12]
	v_and_b32_sdwa v2, v10, s87 dst_sel:DWORD dst_unused:UNUSED_PAD src0_sel:BYTE_3 src1_sel:DWORD
                                        ; implicit-def: $vgpr11
	s_and_saveexec_b64 s[2:3], vcc
	s_xor_b64 s[8:9], exec, s[2:3]
	s_cbranch_execz .LBB19_202
; %bb.189:                              ;   in Loop: Header=BB19_187 Depth=2
	v_cmp_ne_u32_e32 vcc, 0, v10
	v_mov_b32_e32 v11, 0
	s_and_saveexec_b64 s[10:11], vcc
	s_cbranch_execz .LBB19_201
; %bb.190:                              ;   in Loop: Header=BB19_187 Depth=2
	v_bfe_u32 v17, v10, 23, 8
	v_and_b32_e32 v11, 0x7fffff, v10
	v_sub_u32_e32 v10, 0x79, v17
	v_cmp_gt_u32_e32 vcc, s88, v17
	v_cndmask_b32_e32 v10, 0, v10, vcc
	v_cmp_eq_u32_e32 vcc, 0, v17
	v_cndmask_b32_e32 v24, v10, v49, vcc
	v_add_u32_e32 v10, 20, v24
	v_or_b32_e32 v25, 0x800000, v11
	v_lshlrev_b64 v[22:23], v10, -1
	v_cndmask_b32_e32 v11, v25, v11, vcc
	v_add_u32_e32 v10, 19, v24
	v_bfi_b32 v22, v22, 0, v11
	v_lshlrev_b64 v[25:26], v10, 1
	v_lshrrev_b64 v[10:11], v24, v[11:12]
	v_bfi_b32 v23, v23, 0, 0
	v_cmp_eq_u64_e64 s[2:3], v[22:23], v[25:26]
	v_mov_b32_e32 v23, v11
	v_mov_b32_e32 v22, v10
	s_and_saveexec_b64 s[12:13], s[2:3]
; %bb.191:                              ;   in Loop: Header=BB19_187 Depth=2
	v_bfe_u32 v11, v10, 20, 1
	v_add_co_u32_e64 v11, s[2:3], v10, v11
	v_add_co_u32_e64 v22, s[2:3], -1, v11
; %bb.192:                              ;   in Loop: Header=BB19_187 Depth=2
	s_or_b64 exec, exec, s[12:13]
	v_add_u32_e32 v11, 0xffffff81, v17
	v_cndmask_b32_e32 v11, v11, v50, vcc
	v_lshrrev_b32_e32 v17, 23, v10
	v_add3_u32 v25, v24, v11, v17
	v_add_u32_e32 v24, 6, v25
	v_and_b32_e32 v11, 0xfffff, v22
	v_add_u32_e32 v11, v11, v10
	v_cmp_ne_u32_e32 vcc, 0, v24
                                        ; implicit-def: $vgpr22_vgpr23
                                        ; implicit-def: $vgpr17
	s_and_saveexec_b64 s[2:3], vcc
	s_xor_b64 s[2:3], exec, s[2:3]
; %bb.193:                              ;   in Loop: Header=BB19_187 Depth=2
	v_cmp_lt_u64_e32 vcc, s[50:51], v[11:12]
	v_add_u32_e32 v10, 7, v25
	v_cndmask_b32_e32 v17, v24, v10, vcc
	v_cndmask_b32_e64 v10, 0, 1, vcc
	v_lshrrev_b64 v[22:23], v10, v[11:12]
; %bb.194:                              ;   in Loop: Header=BB19_187 Depth=2
	s_andn2_saveexec_b64 s[2:3], s[2:3]
; %bb.195:                              ;   in Loop: Header=BB19_187 Depth=2
	v_mov_b32_e32 v23, v12
	v_bfe_u32 v17, v11, 23, 1
	v_mov_b32_e32 v22, v11
; %bb.196:                              ;   in Loop: Header=BB19_187 Depth=2
	s_or_b64 exec, exec, s[2:3]
	v_lshrrev_b64 v[10:11], 20, v[22:23]
	v_cmp_gt_i32_e32 vcc, 16, v17
	v_cndmask_b32_e32 v11, 0, v11, vcc
	v_cndmask_b32_e32 v10, 7, v10, vcc
	v_cmp_ne_u64_e32 vcc, 0, v[10:11]
	v_cmp_ne_u32_e64 s[2:3], 0, v17
	s_or_b64 s[2:3], s[2:3], vcc
                                        ; implicit-def: $vgpr11
	s_and_saveexec_b64 s[12:13], s[2:3]
	s_xor_b64 s[2:3], exec, s[12:13]
; %bb.197:                              ;   in Loop: Header=BB19_187 Depth=2
	v_min_i32_e32 v11, 15, v17
	v_lshl_or_b32 v2, v11, 3, v2
	v_and_or_b32 v11, v10, 7, v2
                                        ; implicit-def: $vgpr2
; %bb.198:                              ;   in Loop: Header=BB19_187 Depth=2
	s_andn2_saveexec_b64 s[2:3], s[2:3]
; %bb.199:                              ;   in Loop: Header=BB19_187 Depth=2
	v_mov_b32_e32 v11, v2
; %bb.200:                              ;   in Loop: Header=BB19_187 Depth=2
	s_or_b64 exec, exec, s[2:3]
.LBB19_201:                             ;   in Loop: Header=BB19_187 Depth=2
	s_or_b64 exec, exec, s[10:11]
                                        ; implicit-def: $vgpr2
.LBB19_202:                             ;   in Loop: Header=BB19_187 Depth=2
	s_andn2_saveexec_b64 s[2:3], s[8:9]
; %bb.203:                              ;   in Loop: Header=BB19_187 Depth=2
	v_or_b32_e32 v11, 0x7e, v2
; %bb.204:                              ;   in Loop: Header=BB19_187 Depth=2
	s_or_b64 exec, exec, s[2:3]
                                        ; implicit-def: $vgpr10
.LBB19_205:                             ;   in Loop: Header=BB19_187 Depth=2
	s_andn2_saveexec_b64 s[2:3], s[6:7]
	s_cbranch_execz .LBB19_186
; %bb.206:                              ;   in Loop: Header=BB19_187 Depth=2
	v_or_b32_sdwa v11, v10, s91 dst_sel:DWORD dst_unused:UNUSED_PAD src0_sel:BYTE_3 src1_sel:DWORD
	s_branch .LBB19_186
.LBB19_207:                             ;   in Loop: Header=BB19_9 Depth=1
	s_or_b64 exec, exec, s[56:57]
.LBB19_208:                             ;   in Loop: Header=BB19_9 Depth=1
	s_andn2_saveexec_b64 s[4:5], s[54:55]
	s_cbranch_execz .LBB19_357
; %bb.209:                              ;   in Loop: Header=BB19_9 Depth=1
	s_and_saveexec_b64 s[6:7], s[0:1]
	s_cbranch_execz .LBB19_356
; %bb.210:                              ;   in Loop: Header=BB19_9 Depth=1
	v_add_co_u32_e32 v20, vcc, v45, v13
	v_mov_b32_e32 v23, v6
	v_addc_co_u32_e32 v21, vcc, v46, v14, vcc
	s_mov_b64 s[8:9], 0
	v_mov_b32_e32 v22, v5
	v_mov_b32_e32 v32, v37
	s_branch .LBB19_212
.LBB19_211:                             ;   in Loop: Header=BB19_212 Depth=2
	s_or_b64 exec, exec, s[2:3]
	v_lshlrev_b32_e32 v4, 16, v27
	v_lshlrev_b32_e32 v3, 24, v28
	v_and_b32_e32 v4, 0xff0000, v4
	v_lshlrev_b32_e32 v2, 8, v2
	v_or_b32_e32 v3, v3, v4
	v_and_b32_e32 v2, 0xff00, v2
	v_and_b32_e32 v4, 0xff, v26
	v_or3_b32 v2, v3, v2, v4
	v_lshlrev_b32_e32 v3, 16, v25
	v_lshlrev_b32_e32 v4, 8, v24
	v_perm_b32 v1, v1, v3, s93
	v_and_or_b32 v1, v4, s92, v1
	v_or_b32_sdwa v1, v1, v10 dst_sel:DWORD dst_unused:UNUSED_PAD src0_sel:DWORD src1_sel:BYTE_0
	global_store_dwordx2 v[22:23], v[1:2], off
	v_add_co_u32_e32 v22, vcc, 0x100, v22
	v_add_u32_e32 v32, 32, v32
	v_addc_co_u32_e32 v23, vcc, 0, v23, vcc
	v_add_co_u32_e32 v20, vcc, 0x200, v20
	v_cmp_le_i32_e64 s[2:3], s77, v32
	s_or_b64 s[8:9], s[2:3], s[8:9]
	v_addc_co_u32_e32 v21, vcc, 0, v21, vcc
	s_andn2_b64 exec, exec, s[8:9]
	s_cbranch_execz .LBB19_356
.LBB19_212:                             ;   Parent Loop BB19_9 Depth=1
                                        ; =>  This Inner Loop Header: Depth=2
	global_load_dwordx4 v[1:4], v[20:21], off
	s_waitcnt vmcnt(0)
	v_lshlrev_b32_e32 v10, 16, v1
	v_div_scale_f32 v11, s[2:3], s71, s71, v10
	v_div_scale_f32 v17, vcc, v10, s71, v10
	v_rcp_f32_e32 v24, v11
	v_fma_f32 v25, -v11, v24, 1.0
	v_fmac_f32_e32 v24, v25, v24
	v_mul_f32_e32 v25, v17, v24
	v_fma_f32 v26, -v11, v25, v17
	v_fmac_f32_e32 v25, v26, v24
	v_fma_f32 v11, -v11, v25, v17
	v_div_fmas_f32 v11, v11, v24, v25
	v_div_fixup_f32 v24, v11, s71, v10
	v_and_b32_e32 v11, 0x7f800000, v24
	v_cmp_ne_u64_e32 vcc, s[46:47], v[11:12]
                                        ; implicit-def: $vgpr10_vgpr11
	s_and_saveexec_b64 s[2:3], vcc
	s_xor_b64 s[10:11], exec, s[2:3]
	s_cbranch_execz .LBB19_228
; %bb.213:                              ;   in Loop: Header=BB19_212 Depth=2
	v_and_b32_e32 v11, 0x7fffffff, v24
	v_cmp_gt_u64_e32 vcc, s[48:49], v[11:12]
	v_and_b32_sdwa v17, v24, s87 dst_sel:DWORD dst_unused:UNUSED_PAD src0_sel:BYTE_3 src1_sel:DWORD
                                        ; implicit-def: $vgpr10_vgpr11
	s_and_saveexec_b64 s[2:3], vcc
	s_xor_b64 s[12:13], exec, s[2:3]
	s_cbranch_execz .LBB19_225
; %bb.214:                              ;   in Loop: Header=BB19_212 Depth=2
	v_mov_b32_e32 v10, 0
	v_cmp_ne_u32_e32 vcc, 0, v24
	v_mov_b32_e32 v11, 0
	s_and_saveexec_b64 s[14:15], vcc
	s_cbranch_execz .LBB19_224
; %bb.215:                              ;   in Loop: Header=BB19_212 Depth=2
	v_bfe_u32 v26, v24, 23, 8
	v_sub_u32_e32 v11, 0x79, v26
	v_cmp_gt_u32_e32 vcc, s88, v26
	v_cndmask_b32_e32 v11, 0, v11, vcc
	v_cmp_eq_u32_e32 vcc, 0, v26
	v_cndmask_b32_e32 v27, v11, v49, vcc
	v_and_b32_e32 v10, 0x7fffff, v24
	v_add_u32_e32 v11, 20, v27
	v_or_b32_e32 v28, 0x800000, v10
	v_lshlrev_b64 v[24:25], v11, -1
	v_cndmask_b32_e32 v11, v28, v10, vcc
	v_add_u32_e32 v10, 19, v27
	v_bfi_b32 v24, v24, 0, v11
	v_lshlrev_b64 v[28:29], v10, 1
	v_lshrrev_b64 v[10:11], v27, v[11:12]
	v_bfi_b32 v25, v25, 0, 0
	v_cmp_eq_u64_e64 s[2:3], v[24:25], v[28:29]
	v_mov_b32_e32 v25, v11
	v_mov_b32_e32 v24, v10
	s_and_saveexec_b64 s[16:17], s[2:3]
; %bb.216:                              ;   in Loop: Header=BB19_212 Depth=2
	v_bfe_u32 v11, v10, 20, 1
	v_add_co_u32_e64 v11, s[2:3], v10, v11
	v_add_co_u32_e64 v24, s[2:3], -1, v11
; %bb.217:                              ;   in Loop: Header=BB19_212 Depth=2
	s_or_b64 exec, exec, s[16:17]
	v_add_u32_e32 v11, 0xffffff81, v26
	v_cndmask_b32_e32 v11, v11, v50, vcc
	v_lshrrev_b32_e32 v25, 23, v10
	v_add3_u32 v28, v27, v11, v25
	v_add_u32_e32 v27, 6, v28
	v_and_b32_e32 v11, 0xfffff, v24
	v_add_u32_e32 v11, v11, v10
	v_cmp_ne_u32_e32 vcc, 0, v27
                                        ; implicit-def: $vgpr24_vgpr25
                                        ; implicit-def: $vgpr26
	s_and_saveexec_b64 s[2:3], vcc
	s_xor_b64 s[2:3], exec, s[2:3]
; %bb.218:                              ;   in Loop: Header=BB19_212 Depth=2
	v_cmp_lt_u64_e32 vcc, s[50:51], v[11:12]
	v_add_u32_e32 v10, 7, v28
	v_cndmask_b32_e32 v26, v27, v10, vcc
	v_cndmask_b32_e64 v10, 0, 1, vcc
	v_lshrrev_b64 v[24:25], v10, v[11:12]
; %bb.219:                              ;   in Loop: Header=BB19_212 Depth=2
	s_andn2_saveexec_b64 s[2:3], s[2:3]
; %bb.220:                              ;   in Loop: Header=BB19_212 Depth=2
	v_mov_b32_e32 v25, v12
	v_bfe_u32 v26, v11, 23, 1
	v_mov_b32_e32 v24, v11
; %bb.221:                              ;   in Loop: Header=BB19_212 Depth=2
	s_or_b64 exec, exec, s[2:3]
	v_lshrrev_b64 v[10:11], 20, v[24:25]
	v_cmp_gt_i32_e32 vcc, 16, v26
	v_cndmask_b32_e32 v25, 0, v11, vcc
	v_cndmask_b32_e32 v24, 7, v10, vcc
	v_cmp_ne_u64_e32 vcc, 0, v[24:25]
	v_cmp_ne_u32_e64 s[2:3], 0, v26
	s_or_b64 s[2:3], s[2:3], vcc
	v_mov_b32_e32 v10, v17
	v_mov_b32_e32 v11, v18
	s_and_saveexec_b64 s[16:17], s[2:3]
	s_xor_b64 s[2:3], exec, s[16:17]
; %bb.222:                              ;   in Loop: Header=BB19_212 Depth=2
	v_min_i32_e32 v10, 15, v26
	v_lshl_or_b32 v10, v10, 3, v17
	v_and_or_b32 v10, v24, 7, v10
; %bb.223:                              ;   in Loop: Header=BB19_212 Depth=2
	s_andn2_saveexec_b64 s[2:3], s[2:3]
	s_or_b64 exec, exec, s[2:3]
.LBB19_224:                             ;   in Loop: Header=BB19_212 Depth=2
	s_or_b64 exec, exec, s[14:15]
                                        ; implicit-def: $vgpr17
.LBB19_225:                             ;   in Loop: Header=BB19_212 Depth=2
	s_andn2_saveexec_b64 s[2:3], s[12:13]
; %bb.226:                              ;   in Loop: Header=BB19_212 Depth=2
	v_or_b32_e32 v10, 0x7e, v17
; %bb.227:                              ;   in Loop: Header=BB19_212 Depth=2
	s_or_b64 exec, exec, s[2:3]
                                        ; implicit-def: $vgpr24
.LBB19_228:                             ;   in Loop: Header=BB19_212 Depth=2
	s_andn2_saveexec_b64 s[2:3], s[10:11]
; %bb.229:                              ;   in Loop: Header=BB19_212 Depth=2
	v_or_b32_sdwa v10, v24, s91 dst_sel:DWORD dst_unused:UNUSED_PAD src0_sel:BYTE_3 src1_sel:DWORD
; %bb.230:                              ;   in Loop: Header=BB19_212 Depth=2
	s_or_b64 exec, exec, s[2:3]
	v_and_b32_e32 v1, 0xffff0000, v1
	v_div_scale_f32 v11, s[2:3], s71, s71, v1
	v_div_scale_f32 v17, vcc, v1, s71, v1
	v_rcp_f32_e32 v24, v11
	v_fma_f32 v25, -v11, v24, 1.0
	v_fmac_f32_e32 v24, v25, v24
	v_mul_f32_e32 v25, v17, v24
	v_fma_f32 v26, -v11, v25, v17
	v_fmac_f32_e32 v25, v26, v24
	v_fma_f32 v11, -v11, v25, v17
	v_div_fmas_f32 v11, v11, v24, v25
                                        ; implicit-def: $vgpr24_vgpr25
	v_div_fixup_f32 v17, v11, s71, v1
	v_and_b32_e32 v11, 0x7f800000, v17
	v_cmp_ne_u64_e32 vcc, s[46:47], v[11:12]
	s_and_saveexec_b64 s[2:3], vcc
	s_xor_b64 s[10:11], exec, s[2:3]
	s_cbranch_execz .LBB19_246
; %bb.231:                              ;   in Loop: Header=BB19_212 Depth=2
	v_and_b32_e32 v11, 0x7fffffff, v17
	v_cmp_gt_u64_e32 vcc, s[48:49], v[11:12]
	v_and_b32_sdwa v1, v17, s87 dst_sel:DWORD dst_unused:UNUSED_PAD src0_sel:BYTE_3 src1_sel:DWORD
                                        ; implicit-def: $vgpr24_vgpr25
	s_and_saveexec_b64 s[2:3], vcc
	s_xor_b64 s[12:13], exec, s[2:3]
	s_cbranch_execz .LBB19_243
; %bb.232:                              ;   in Loop: Header=BB19_212 Depth=2
	v_mov_b32_e32 v24, 0
	v_cmp_ne_u32_e32 vcc, 0, v17
	v_mov_b32_e32 v25, 0
	s_and_saveexec_b64 s[14:15], vcc
	s_cbranch_execz .LBB19_242
; %bb.233:                              ;   in Loop: Header=BB19_212 Depth=2
	v_and_b32_e32 v11, 0x7fffff, v17
	v_bfe_u32 v17, v17, 23, 8
	v_sub_u32_e32 v24, 0x79, v17
	v_cmp_gt_u32_e32 vcc, s88, v17
	v_cndmask_b32_e32 v24, 0, v24, vcc
	v_cmp_eq_u32_e32 vcc, 0, v17
	v_cndmask_b32_e32 v27, v24, v49, vcc
	v_add_u32_e32 v24, 20, v27
	v_or_b32_e32 v26, 0x800000, v11
	v_lshlrev_b64 v[24:25], v24, -1
	v_cndmask_b32_e32 v11, v26, v11, vcc
	v_bfi_b32 v28, v24, 0, v11
	v_add_u32_e32 v24, 19, v27
	v_bfi_b32 v29, v25, 0, 0
	v_lshlrev_b64 v[30:31], v24, 1
	v_lshrrev_b64 v[24:25], v27, v[11:12]
	v_cmp_eq_u64_e64 s[2:3], v[28:29], v[30:31]
	v_mov_b32_e32 v26, v25
	v_mov_b32_e32 v25, v24
	s_and_saveexec_b64 s[16:17], s[2:3]
; %bb.234:                              ;   in Loop: Header=BB19_212 Depth=2
	v_bfe_u32 v11, v24, 20, 1
	v_add_co_u32_e64 v11, s[2:3], v24, v11
	v_add_co_u32_e64 v25, s[2:3], -1, v11
; %bb.235:                              ;   in Loop: Header=BB19_212 Depth=2
	s_or_b64 exec, exec, s[16:17]
	v_add_u32_e32 v11, 0xffffff81, v17
	v_cndmask_b32_e32 v11, v11, v50, vcc
	v_lshrrev_b32_e32 v17, 23, v24
	v_add3_u32 v27, v27, v11, v17
	v_add_u32_e32 v26, 6, v27
	v_and_b32_e32 v11, 0xfffff, v25
	v_add_u32_e32 v11, v11, v24
	v_cmp_ne_u32_e32 vcc, 0, v26
                                        ; implicit-def: $vgpr24_vgpr25
                                        ; implicit-def: $vgpr17
	s_and_saveexec_b64 s[2:3], vcc
	s_xor_b64 s[2:3], exec, s[2:3]
; %bb.236:                              ;   in Loop: Header=BB19_212 Depth=2
	v_cmp_lt_u64_e32 vcc, s[50:51], v[11:12]
	v_add_u32_e32 v17, 7, v27
	v_cndmask_b32_e64 v24, 0, 1, vcc
	v_lshrrev_b64 v[24:25], v24, v[11:12]
	v_cndmask_b32_e32 v17, v26, v17, vcc
; %bb.237:                              ;   in Loop: Header=BB19_212 Depth=2
	s_andn2_saveexec_b64 s[2:3], s[2:3]
; %bb.238:                              ;   in Loop: Header=BB19_212 Depth=2
	v_mov_b32_e32 v25, v12
	v_bfe_u32 v17, v11, 23, 1
	v_mov_b32_e32 v24, v11
; %bb.239:                              ;   in Loop: Header=BB19_212 Depth=2
	s_or_b64 exec, exec, s[2:3]
	v_lshrrev_b64 v[24:25], 20, v[24:25]
	v_cmp_gt_i32_e32 vcc, 16, v17
	v_cndmask_b32_e32 v27, 0, v25, vcc
	v_cndmask_b32_e32 v26, 7, v24, vcc
	v_cmp_ne_u64_e32 vcc, 0, v[26:27]
	v_cmp_ne_u32_e64 s[2:3], 0, v17
	v_mov_b32_e32 v25, v2
	s_or_b64 s[2:3], s[2:3], vcc
	v_mov_b32_e32 v24, v1
	s_and_saveexec_b64 s[16:17], s[2:3]
	s_xor_b64 s[2:3], exec, s[16:17]
; %bb.240:                              ;   in Loop: Header=BB19_212 Depth=2
	v_min_i32_e32 v11, 15, v17
	v_lshl_or_b32 v1, v11, 3, v1
	v_and_or_b32 v24, v26, 7, v1
; %bb.241:                              ;   in Loop: Header=BB19_212 Depth=2
	s_andn2_saveexec_b64 s[2:3], s[2:3]
	s_or_b64 exec, exec, s[2:3]
.LBB19_242:                             ;   in Loop: Header=BB19_212 Depth=2
	s_or_b64 exec, exec, s[14:15]
                                        ; implicit-def: $vgpr1
.LBB19_243:                             ;   in Loop: Header=BB19_212 Depth=2
	s_andn2_saveexec_b64 s[2:3], s[12:13]
; %bb.244:                              ;   in Loop: Header=BB19_212 Depth=2
	v_or_b32_e32 v24, 0x7e, v1
; %bb.245:                              ;   in Loop: Header=BB19_212 Depth=2
	s_or_b64 exec, exec, s[2:3]
                                        ; implicit-def: $vgpr17
.LBB19_246:                             ;   in Loop: Header=BB19_212 Depth=2
	s_andn2_saveexec_b64 s[2:3], s[10:11]
; %bb.247:                              ;   in Loop: Header=BB19_212 Depth=2
	v_or_b32_sdwa v24, v17, s91 dst_sel:DWORD dst_unused:UNUSED_PAD src0_sel:BYTE_3 src1_sel:DWORD
; %bb.248:                              ;   in Loop: Header=BB19_212 Depth=2
	s_or_b64 exec, exec, s[2:3]
	v_lshlrev_b32_e32 v1, 16, v2
	v_div_scale_f32 v11, s[2:3], s71, s71, v1
	v_div_scale_f32 v17, vcc, v1, s71, v1
	v_rcp_f32_e32 v25, v11
	v_fma_f32 v26, -v11, v25, 1.0
	v_fmac_f32_e32 v25, v26, v25
	v_mul_f32_e32 v26, v17, v25
	v_fma_f32 v27, -v11, v26, v17
	v_fmac_f32_e32 v26, v27, v25
	v_fma_f32 v11, -v11, v26, v17
	v_div_fmas_f32 v11, v11, v25, v26
                                        ; implicit-def: $vgpr25_vgpr26
	v_div_fixup_f32 v17, v11, s71, v1
	v_and_b32_e32 v11, 0x7f800000, v17
	v_cmp_ne_u64_e32 vcc, s[46:47], v[11:12]
	s_and_saveexec_b64 s[2:3], vcc
	s_xor_b64 s[10:11], exec, s[2:3]
	s_cbranch_execz .LBB19_264
; %bb.249:                              ;   in Loop: Header=BB19_212 Depth=2
	v_and_b32_e32 v11, 0x7fffffff, v17
	v_cmp_gt_u64_e32 vcc, s[48:49], v[11:12]
	v_and_b32_sdwa v1, v17, s87 dst_sel:DWORD dst_unused:UNUSED_PAD src0_sel:BYTE_3 src1_sel:DWORD
                                        ; implicit-def: $vgpr25_vgpr26
	s_and_saveexec_b64 s[2:3], vcc
	s_xor_b64 s[12:13], exec, s[2:3]
	s_cbranch_execz .LBB19_261
; %bb.250:                              ;   in Loop: Header=BB19_212 Depth=2
	v_mov_b32_e32 v25, 0
	v_cmp_ne_u32_e32 vcc, 0, v17
	v_mov_b32_e32 v26, 0
	s_and_saveexec_b64 s[14:15], vcc
	s_cbranch_execz .LBB19_260
; %bb.251:                              ;   in Loop: Header=BB19_212 Depth=2
	v_and_b32_e32 v11, 0x7fffff, v17
	v_bfe_u32 v17, v17, 23, 8
	v_sub_u32_e32 v25, 0x79, v17
	v_cmp_gt_u32_e32 vcc, s88, v17
	v_cndmask_b32_e32 v25, 0, v25, vcc
	v_cmp_eq_u32_e32 vcc, 0, v17
	v_cndmask_b32_e32 v28, v25, v49, vcc
	v_add_u32_e32 v25, 20, v28
	v_or_b32_e32 v27, 0x800000, v11
	v_lshlrev_b64 v[25:26], v25, -1
	v_cndmask_b32_e32 v11, v27, v11, vcc
	v_bfi_b32 v29, v25, 0, v11
	v_add_u32_e32 v25, 19, v28
	v_bfi_b32 v30, v26, 0, 0
	v_lshlrev_b64 v[33:34], v25, 1
	v_lshrrev_b64 v[25:26], v28, v[11:12]
	v_cmp_eq_u64_e64 s[2:3], v[29:30], v[33:34]
	v_mov_b32_e32 v27, v26
	v_mov_b32_e32 v26, v25
	s_and_saveexec_b64 s[16:17], s[2:3]
; %bb.252:                              ;   in Loop: Header=BB19_212 Depth=2
	v_bfe_u32 v11, v25, 20, 1
	v_add_co_u32_e64 v11, s[2:3], v25, v11
	v_add_co_u32_e64 v26, s[2:3], -1, v11
; %bb.253:                              ;   in Loop: Header=BB19_212 Depth=2
	s_or_b64 exec, exec, s[16:17]
	v_add_u32_e32 v11, 0xffffff81, v17
	v_cndmask_b32_e32 v11, v11, v50, vcc
	v_lshrrev_b32_e32 v17, 23, v25
	v_add3_u32 v28, v28, v11, v17
	v_add_u32_e32 v27, 6, v28
	v_and_b32_e32 v11, 0xfffff, v26
	v_add_u32_e32 v11, v11, v25
	v_cmp_ne_u32_e32 vcc, 0, v27
                                        ; implicit-def: $vgpr25_vgpr26
                                        ; implicit-def: $vgpr17
	s_and_saveexec_b64 s[2:3], vcc
	s_xor_b64 s[2:3], exec, s[2:3]
; %bb.254:                              ;   in Loop: Header=BB19_212 Depth=2
	v_cmp_lt_u64_e32 vcc, s[50:51], v[11:12]
	v_add_u32_e32 v17, 7, v28
	v_cndmask_b32_e64 v25, 0, 1, vcc
	v_lshrrev_b64 v[25:26], v25, v[11:12]
	v_cndmask_b32_e32 v17, v27, v17, vcc
; %bb.255:                              ;   in Loop: Header=BB19_212 Depth=2
	s_andn2_saveexec_b64 s[2:3], s[2:3]
; %bb.256:                              ;   in Loop: Header=BB19_212 Depth=2
	v_mov_b32_e32 v26, v12
	v_bfe_u32 v17, v11, 23, 1
	v_mov_b32_e32 v25, v11
; %bb.257:                              ;   in Loop: Header=BB19_212 Depth=2
	s_or_b64 exec, exec, s[2:3]
	v_lshrrev_b64 v[25:26], 20, v[25:26]
	v_cmp_gt_i32_e32 vcc, 16, v17
	v_cndmask_b32_e32 v28, 0, v26, vcc
	v_cndmask_b32_e32 v27, 7, v25, vcc
	v_cmp_ne_u64_e32 vcc, 0, v[27:28]
	v_cmp_ne_u32_e64 s[2:3], 0, v17
	v_mov_b32_e32 v26, v2
	s_or_b64 s[2:3], s[2:3], vcc
	v_mov_b32_e32 v25, v1
	s_and_saveexec_b64 s[16:17], s[2:3]
	s_xor_b64 s[2:3], exec, s[16:17]
; %bb.258:                              ;   in Loop: Header=BB19_212 Depth=2
	v_min_i32_e32 v11, 15, v17
	v_lshl_or_b32 v1, v11, 3, v1
	v_and_or_b32 v25, v27, 7, v1
; %bb.259:                              ;   in Loop: Header=BB19_212 Depth=2
	s_andn2_saveexec_b64 s[2:3], s[2:3]
	s_or_b64 exec, exec, s[2:3]
.LBB19_260:                             ;   in Loop: Header=BB19_212 Depth=2
	s_or_b64 exec, exec, s[14:15]
                                        ; implicit-def: $vgpr1
.LBB19_261:                             ;   in Loop: Header=BB19_212 Depth=2
	s_andn2_saveexec_b64 s[2:3], s[12:13]
; %bb.262:                              ;   in Loop: Header=BB19_212 Depth=2
	v_or_b32_e32 v25, 0x7e, v1
; %bb.263:                              ;   in Loop: Header=BB19_212 Depth=2
	s_or_b64 exec, exec, s[2:3]
                                        ; implicit-def: $vgpr17
.LBB19_264:                             ;   in Loop: Header=BB19_212 Depth=2
	s_andn2_saveexec_b64 s[2:3], s[10:11]
; %bb.265:                              ;   in Loop: Header=BB19_212 Depth=2
	v_or_b32_sdwa v25, v17, s91 dst_sel:DWORD dst_unused:UNUSED_PAD src0_sel:BYTE_3 src1_sel:DWORD
; %bb.266:                              ;   in Loop: Header=BB19_212 Depth=2
	s_or_b64 exec, exec, s[2:3]
	v_and_b32_e32 v1, 0xffff0000, v2
	v_div_scale_f32 v2, s[2:3], s71, s71, v1
	v_div_scale_f32 v11, vcc, v1, s71, v1
	v_rcp_f32_e32 v17, v2
	v_fma_f32 v26, -v2, v17, 1.0
	v_fmac_f32_e32 v17, v26, v17
	v_mul_f32_e32 v26, v11, v17
	v_fma_f32 v27, -v2, v26, v11
	v_fmac_f32_e32 v26, v27, v17
	v_fma_f32 v2, -v2, v26, v11
	v_div_fmas_f32 v2, v2, v17, v26
	v_div_fixup_f32 v26, v2, s71, v1
	v_and_b32_e32 v11, 0x7f800000, v26
	v_cmp_ne_u64_e32 vcc, s[46:47], v[11:12]
                                        ; implicit-def: $vgpr1_vgpr2
	s_and_saveexec_b64 s[2:3], vcc
	s_xor_b64 s[10:11], exec, s[2:3]
	s_cbranch_execz .LBB19_282
; %bb.267:                              ;   in Loop: Header=BB19_212 Depth=2
	v_and_b32_e32 v11, 0x7fffffff, v26
	v_cmp_gt_u64_e32 vcc, s[48:49], v[11:12]
	v_and_b32_sdwa v17, v26, s87 dst_sel:DWORD dst_unused:UNUSED_PAD src0_sel:BYTE_3 src1_sel:DWORD
                                        ; implicit-def: $vgpr1_vgpr2
	s_and_saveexec_b64 s[2:3], vcc
	s_xor_b64 s[12:13], exec, s[2:3]
	s_cbranch_execz .LBB19_279
; %bb.268:                              ;   in Loop: Header=BB19_212 Depth=2
	v_mov_b32_e32 v1, 0
	v_cmp_ne_u32_e32 vcc, 0, v26
	v_mov_b32_e32 v2, 0
	s_and_saveexec_b64 s[14:15], vcc
	s_cbranch_execz .LBB19_278
; %bb.269:                              ;   in Loop: Header=BB19_212 Depth=2
	v_bfe_u32 v28, v26, 23, 8
	v_sub_u32_e32 v1, 0x79, v28
	v_cmp_gt_u32_e32 vcc, s88, v28
	v_cndmask_b32_e32 v1, 0, v1, vcc
	v_cmp_eq_u32_e32 vcc, 0, v28
	v_cndmask_b32_e32 v29, v1, v49, vcc
	v_and_b32_e32 v11, 0x7fffff, v26
	v_add_u32_e32 v1, 20, v29
	v_or_b32_e32 v26, 0x800000, v11
	v_lshlrev_b64 v[1:2], v1, -1
	v_cndmask_b32_e32 v11, v26, v11, vcc
	v_bfi_b32 v26, v1, 0, v11
	v_add_u32_e32 v1, 19, v29
	v_bfi_b32 v27, v2, 0, 0
	v_lshlrev_b64 v[30:31], v1, 1
	v_lshrrev_b64 v[1:2], v29, v[11:12]
	v_cmp_eq_u64_e64 s[2:3], v[26:27], v[30:31]
	v_mov_b32_e32 v27, v2
	v_mov_b32_e32 v26, v1
	s_and_saveexec_b64 s[16:17], s[2:3]
; %bb.270:                              ;   in Loop: Header=BB19_212 Depth=2
	v_bfe_u32 v2, v1, 20, 1
	v_add_co_u32_e64 v2, s[2:3], v1, v2
	v_add_co_u32_e64 v26, s[2:3], -1, v2
; %bb.271:                              ;   in Loop: Header=BB19_212 Depth=2
	s_or_b64 exec, exec, s[16:17]
	v_add_u32_e32 v2, 0xffffff81, v28
	v_cndmask_b32_e32 v2, v2, v50, vcc
	v_lshrrev_b32_e32 v11, 23, v1
	v_add3_u32 v29, v29, v2, v11
	v_add_u32_e32 v27, 6, v29
	v_and_b32_e32 v2, 0xfffff, v26
	v_add_u32_e32 v11, v2, v1
	v_cmp_ne_u32_e32 vcc, 0, v27
                                        ; implicit-def: $vgpr1_vgpr2
                                        ; implicit-def: $vgpr28
	s_and_saveexec_b64 s[2:3], vcc
	s_xor_b64 s[2:3], exec, s[2:3]
; %bb.272:                              ;   in Loop: Header=BB19_212 Depth=2
	v_cmp_lt_u64_e32 vcc, s[50:51], v[11:12]
	v_add_u32_e32 v1, 7, v29
	v_cndmask_b32_e32 v28, v27, v1, vcc
	v_cndmask_b32_e64 v1, 0, 1, vcc
	v_lshrrev_b64 v[1:2], v1, v[11:12]
; %bb.273:                              ;   in Loop: Header=BB19_212 Depth=2
	s_andn2_saveexec_b64 s[2:3], s[2:3]
; %bb.274:                              ;   in Loop: Header=BB19_212 Depth=2
	v_mov_b32_e32 v1, v11
	v_bfe_u32 v28, v11, 23, 1
	v_mov_b32_e32 v2, v12
; %bb.275:                              ;   in Loop: Header=BB19_212 Depth=2
	s_or_b64 exec, exec, s[2:3]
	v_lshrrev_b64 v[1:2], 20, v[1:2]
	v_cmp_gt_i32_e32 vcc, 16, v28
	v_cndmask_b32_e32 v27, 0, v2, vcc
	v_cndmask_b32_e32 v26, 7, v1, vcc
	v_cmp_ne_u64_e32 vcc, 0, v[26:27]
	v_cmp_ne_u32_e64 s[2:3], 0, v28
	s_or_b64 s[2:3], s[2:3], vcc
	v_mov_b32_e32 v1, v17
	v_mov_b32_e32 v2, v18
	s_and_saveexec_b64 s[16:17], s[2:3]
	s_xor_b64 s[2:3], exec, s[16:17]
; %bb.276:                              ;   in Loop: Header=BB19_212 Depth=2
	v_min_i32_e32 v1, 15, v28
	v_lshl_or_b32 v1, v1, 3, v17
	v_and_or_b32 v1, v26, 7, v1
; %bb.277:                              ;   in Loop: Header=BB19_212 Depth=2
	s_andn2_saveexec_b64 s[2:3], s[2:3]
	s_or_b64 exec, exec, s[2:3]
.LBB19_278:                             ;   in Loop: Header=BB19_212 Depth=2
	s_or_b64 exec, exec, s[14:15]
                                        ; implicit-def: $vgpr17
.LBB19_279:                             ;   in Loop: Header=BB19_212 Depth=2
	s_andn2_saveexec_b64 s[2:3], s[12:13]
; %bb.280:                              ;   in Loop: Header=BB19_212 Depth=2
	v_or_b32_e32 v1, 0x7e, v17
; %bb.281:                              ;   in Loop: Header=BB19_212 Depth=2
	s_or_b64 exec, exec, s[2:3]
                                        ; implicit-def: $vgpr26
.LBB19_282:                             ;   in Loop: Header=BB19_212 Depth=2
	s_andn2_saveexec_b64 s[2:3], s[10:11]
; %bb.283:                              ;   in Loop: Header=BB19_212 Depth=2
	v_or_b32_sdwa v1, v26, s91 dst_sel:DWORD dst_unused:UNUSED_PAD src0_sel:BYTE_3 src1_sel:DWORD
; %bb.284:                              ;   in Loop: Header=BB19_212 Depth=2
	s_or_b64 exec, exec, s[2:3]
	v_lshlrev_b32_e32 v2, 16, v3
	v_div_scale_f32 v11, s[2:3], s71, s71, v2
	v_div_scale_f32 v17, vcc, v2, s71, v2
	v_rcp_f32_e32 v26, v11
	v_fma_f32 v27, -v11, v26, 1.0
	v_fmac_f32_e32 v26, v27, v26
	v_mul_f32_e32 v27, v17, v26
	v_fma_f32 v28, -v11, v27, v17
	v_fmac_f32_e32 v27, v28, v26
	v_fma_f32 v11, -v11, v27, v17
	v_div_fmas_f32 v11, v11, v26, v27
                                        ; implicit-def: $vgpr26_vgpr27
	v_div_fixup_f32 v17, v11, s71, v2
	v_and_b32_e32 v11, 0x7f800000, v17
	v_cmp_ne_u64_e32 vcc, s[46:47], v[11:12]
	s_and_saveexec_b64 s[2:3], vcc
	s_xor_b64 s[10:11], exec, s[2:3]
	s_cbranch_execz .LBB19_300
; %bb.285:                              ;   in Loop: Header=BB19_212 Depth=2
	v_and_b32_e32 v11, 0x7fffffff, v17
	v_cmp_gt_u64_e32 vcc, s[48:49], v[11:12]
	v_and_b32_sdwa v2, v17, s87 dst_sel:DWORD dst_unused:UNUSED_PAD src0_sel:BYTE_3 src1_sel:DWORD
                                        ; implicit-def: $vgpr26_vgpr27
	s_and_saveexec_b64 s[2:3], vcc
	s_xor_b64 s[12:13], exec, s[2:3]
	s_cbranch_execz .LBB19_297
; %bb.286:                              ;   in Loop: Header=BB19_212 Depth=2
	v_mov_b32_e32 v26, 0
	v_cmp_ne_u32_e32 vcc, 0, v17
	v_mov_b32_e32 v27, 0
	s_and_saveexec_b64 s[14:15], vcc
	s_cbranch_execz .LBB19_296
; %bb.287:                              ;   in Loop: Header=BB19_212 Depth=2
	v_and_b32_e32 v11, 0x7fffff, v17
	v_bfe_u32 v17, v17, 23, 8
	v_sub_u32_e32 v26, 0x79, v17
	v_cmp_gt_u32_e32 vcc, s88, v17
	v_cndmask_b32_e32 v26, 0, v26, vcc
	v_cmp_eq_u32_e32 vcc, 0, v17
	v_cndmask_b32_e32 v29, v26, v49, vcc
	v_add_u32_e32 v26, 20, v29
	v_or_b32_e32 v28, 0x800000, v11
	v_lshlrev_b64 v[26:27], v26, -1
	v_cndmask_b32_e32 v11, v28, v11, vcc
	v_bfi_b32 v30, v26, 0, v11
	v_add_u32_e32 v26, 19, v29
	v_bfi_b32 v31, v27, 0, 0
	v_lshlrev_b64 v[33:34], v26, 1
	v_lshrrev_b64 v[26:27], v29, v[11:12]
	v_cmp_eq_u64_e64 s[2:3], v[30:31], v[33:34]
	v_mov_b32_e32 v28, v27
	v_mov_b32_e32 v27, v26
	s_and_saveexec_b64 s[16:17], s[2:3]
; %bb.288:                              ;   in Loop: Header=BB19_212 Depth=2
	v_bfe_u32 v11, v26, 20, 1
	v_add_co_u32_e64 v11, s[2:3], v26, v11
	v_add_co_u32_e64 v27, s[2:3], -1, v11
; %bb.289:                              ;   in Loop: Header=BB19_212 Depth=2
	s_or_b64 exec, exec, s[16:17]
	v_add_u32_e32 v11, 0xffffff81, v17
	v_cndmask_b32_e32 v11, v11, v50, vcc
	v_lshrrev_b32_e32 v17, 23, v26
	v_add3_u32 v29, v29, v11, v17
	v_add_u32_e32 v28, 6, v29
	v_and_b32_e32 v11, 0xfffff, v27
	v_add_u32_e32 v11, v11, v26
	v_cmp_ne_u32_e32 vcc, 0, v28
                                        ; implicit-def: $vgpr26_vgpr27
                                        ; implicit-def: $vgpr17
	s_and_saveexec_b64 s[2:3], vcc
	s_xor_b64 s[2:3], exec, s[2:3]
; %bb.290:                              ;   in Loop: Header=BB19_212 Depth=2
	v_cmp_lt_u64_e32 vcc, s[50:51], v[11:12]
	v_add_u32_e32 v17, 7, v29
	v_cndmask_b32_e64 v26, 0, 1, vcc
	v_lshrrev_b64 v[26:27], v26, v[11:12]
	v_cndmask_b32_e32 v17, v28, v17, vcc
; %bb.291:                              ;   in Loop: Header=BB19_212 Depth=2
	s_andn2_saveexec_b64 s[2:3], s[2:3]
; %bb.292:                              ;   in Loop: Header=BB19_212 Depth=2
	v_mov_b32_e32 v27, v12
	v_bfe_u32 v17, v11, 23, 1
	v_mov_b32_e32 v26, v11
; %bb.293:                              ;   in Loop: Header=BB19_212 Depth=2
	s_or_b64 exec, exec, s[2:3]
	v_lshrrev_b64 v[26:27], 20, v[26:27]
	v_cmp_gt_i32_e32 vcc, 16, v17
	v_cndmask_b32_e32 v29, 0, v27, vcc
	v_cndmask_b32_e32 v28, 7, v26, vcc
	v_cmp_ne_u64_e32 vcc, 0, v[28:29]
	v_cmp_ne_u32_e64 s[2:3], 0, v17
	v_mov_b32_e32 v27, v3
	s_or_b64 s[2:3], s[2:3], vcc
	v_mov_b32_e32 v26, v2
	s_and_saveexec_b64 s[16:17], s[2:3]
	s_xor_b64 s[2:3], exec, s[16:17]
; %bb.294:                              ;   in Loop: Header=BB19_212 Depth=2
	v_min_i32_e32 v11, 15, v17
	v_lshl_or_b32 v2, v11, 3, v2
	v_and_or_b32 v26, v28, 7, v2
; %bb.295:                              ;   in Loop: Header=BB19_212 Depth=2
	s_andn2_saveexec_b64 s[2:3], s[2:3]
	s_or_b64 exec, exec, s[2:3]
.LBB19_296:                             ;   in Loop: Header=BB19_212 Depth=2
	s_or_b64 exec, exec, s[14:15]
                                        ; implicit-def: $vgpr2
.LBB19_297:                             ;   in Loop: Header=BB19_212 Depth=2
	s_andn2_saveexec_b64 s[2:3], s[12:13]
; %bb.298:                              ;   in Loop: Header=BB19_212 Depth=2
	v_or_b32_e32 v26, 0x7e, v2
; %bb.299:                              ;   in Loop: Header=BB19_212 Depth=2
	s_or_b64 exec, exec, s[2:3]
                                        ; implicit-def: $vgpr17
.LBB19_300:                             ;   in Loop: Header=BB19_212 Depth=2
	s_andn2_saveexec_b64 s[2:3], s[10:11]
; %bb.301:                              ;   in Loop: Header=BB19_212 Depth=2
	v_or_b32_sdwa v26, v17, s91 dst_sel:DWORD dst_unused:UNUSED_PAD src0_sel:BYTE_3 src1_sel:DWORD
; %bb.302:                              ;   in Loop: Header=BB19_212 Depth=2
	s_or_b64 exec, exec, s[2:3]
	v_and_b32_e32 v2, 0xffff0000, v3
	v_div_scale_f32 v3, s[2:3], s71, s71, v2
	v_div_scale_f32 v11, vcc, v2, s71, v2
	v_rcp_f32_e32 v17, v3
	v_fma_f32 v27, -v3, v17, 1.0
	v_fmac_f32_e32 v17, v27, v17
	v_mul_f32_e32 v27, v11, v17
	v_fma_f32 v28, -v3, v27, v11
	v_fmac_f32_e32 v27, v28, v17
	v_fma_f32 v3, -v3, v27, v11
	v_div_fmas_f32 v3, v3, v17, v27
	v_div_fixup_f32 v27, v3, s71, v2
	v_and_b32_e32 v11, 0x7f800000, v27
	v_cmp_ne_u64_e32 vcc, s[46:47], v[11:12]
                                        ; implicit-def: $vgpr2_vgpr3
	s_and_saveexec_b64 s[2:3], vcc
	s_xor_b64 s[10:11], exec, s[2:3]
	s_cbranch_execz .LBB19_318
; %bb.303:                              ;   in Loop: Header=BB19_212 Depth=2
	v_and_b32_e32 v11, 0x7fffffff, v27
	v_cmp_gt_u64_e32 vcc, s[48:49], v[11:12]
	v_and_b32_sdwa v17, v27, s87 dst_sel:DWORD dst_unused:UNUSED_PAD src0_sel:BYTE_3 src1_sel:DWORD
                                        ; implicit-def: $vgpr2_vgpr3
	s_and_saveexec_b64 s[2:3], vcc
	s_xor_b64 s[12:13], exec, s[2:3]
	s_cbranch_execz .LBB19_315
; %bb.304:                              ;   in Loop: Header=BB19_212 Depth=2
	v_mov_b32_e32 v2, 0
	v_cmp_ne_u32_e32 vcc, 0, v27
	v_mov_b32_e32 v3, 0
	s_and_saveexec_b64 s[14:15], vcc
	s_cbranch_execz .LBB19_314
; %bb.305:                              ;   in Loop: Header=BB19_212 Depth=2
	v_bfe_u32 v29, v27, 23, 8
	v_sub_u32_e32 v2, 0x79, v29
	v_cmp_gt_u32_e32 vcc, s88, v29
	v_cndmask_b32_e32 v2, 0, v2, vcc
	v_cmp_eq_u32_e32 vcc, 0, v29
	v_cndmask_b32_e32 v30, v2, v49, vcc
	v_and_b32_e32 v11, 0x7fffff, v27
	v_add_u32_e32 v2, 20, v30
	v_or_b32_e32 v27, 0x800000, v11
	v_lshlrev_b64 v[2:3], v2, -1
	v_cndmask_b32_e32 v11, v27, v11, vcc
	v_bfi_b32 v27, v2, 0, v11
	v_add_u32_e32 v2, 19, v30
	v_bfi_b32 v28, v3, 0, 0
	v_lshlrev_b64 v[33:34], v2, 1
	v_lshrrev_b64 v[2:3], v30, v[11:12]
	v_cmp_eq_u64_e64 s[2:3], v[27:28], v[33:34]
	v_mov_b32_e32 v28, v3
	v_mov_b32_e32 v27, v2
	s_and_saveexec_b64 s[16:17], s[2:3]
; %bb.306:                              ;   in Loop: Header=BB19_212 Depth=2
	v_bfe_u32 v3, v2, 20, 1
	v_add_co_u32_e64 v3, s[2:3], v2, v3
	v_add_co_u32_e64 v27, s[2:3], -1, v3
; %bb.307:                              ;   in Loop: Header=BB19_212 Depth=2
	s_or_b64 exec, exec, s[16:17]
	v_add_u32_e32 v3, 0xffffff81, v29
	v_cndmask_b32_e32 v3, v3, v50, vcc
	v_lshrrev_b32_e32 v11, 23, v2
	v_add3_u32 v30, v30, v3, v11
	v_add_u32_e32 v28, 6, v30
	v_and_b32_e32 v3, 0xfffff, v27
	v_add_u32_e32 v11, v3, v2
	v_cmp_ne_u32_e32 vcc, 0, v28
                                        ; implicit-def: $vgpr2_vgpr3
                                        ; implicit-def: $vgpr29
	s_and_saveexec_b64 s[2:3], vcc
	s_xor_b64 s[2:3], exec, s[2:3]
; %bb.308:                              ;   in Loop: Header=BB19_212 Depth=2
	v_cmp_lt_u64_e32 vcc, s[50:51], v[11:12]
	v_add_u32_e32 v2, 7, v30
	v_cndmask_b32_e32 v29, v28, v2, vcc
	v_cndmask_b32_e64 v2, 0, 1, vcc
	v_lshrrev_b64 v[2:3], v2, v[11:12]
; %bb.309:                              ;   in Loop: Header=BB19_212 Depth=2
	s_andn2_saveexec_b64 s[2:3], s[2:3]
; %bb.310:                              ;   in Loop: Header=BB19_212 Depth=2
	v_mov_b32_e32 v2, v11
	v_bfe_u32 v29, v11, 23, 1
	v_mov_b32_e32 v3, v12
; %bb.311:                              ;   in Loop: Header=BB19_212 Depth=2
	s_or_b64 exec, exec, s[2:3]
	v_lshrrev_b64 v[2:3], 20, v[2:3]
	v_cmp_gt_i32_e32 vcc, 16, v29
	v_cndmask_b32_e32 v28, 0, v3, vcc
	v_cndmask_b32_e32 v27, 7, v2, vcc
	v_cmp_ne_u64_e32 vcc, 0, v[27:28]
	v_cmp_ne_u32_e64 s[2:3], 0, v29
	s_or_b64 s[2:3], s[2:3], vcc
	v_mov_b32_e32 v2, v17
	v_mov_b32_e32 v3, v18
	s_and_saveexec_b64 s[16:17], s[2:3]
	s_xor_b64 s[2:3], exec, s[16:17]
; %bb.312:                              ;   in Loop: Header=BB19_212 Depth=2
	v_min_i32_e32 v2, 15, v29
	v_lshl_or_b32 v2, v2, 3, v17
	v_and_or_b32 v2, v27, 7, v2
; %bb.313:                              ;   in Loop: Header=BB19_212 Depth=2
	s_andn2_saveexec_b64 s[2:3], s[2:3]
	s_or_b64 exec, exec, s[2:3]
.LBB19_314:                             ;   in Loop: Header=BB19_212 Depth=2
	s_or_b64 exec, exec, s[14:15]
                                        ; implicit-def: $vgpr17
.LBB19_315:                             ;   in Loop: Header=BB19_212 Depth=2
	s_andn2_saveexec_b64 s[2:3], s[12:13]
; %bb.316:                              ;   in Loop: Header=BB19_212 Depth=2
	v_or_b32_e32 v2, 0x7e, v17
; %bb.317:                              ;   in Loop: Header=BB19_212 Depth=2
	s_or_b64 exec, exec, s[2:3]
                                        ; implicit-def: $vgpr27
.LBB19_318:                             ;   in Loop: Header=BB19_212 Depth=2
	s_andn2_saveexec_b64 s[2:3], s[10:11]
; %bb.319:                              ;   in Loop: Header=BB19_212 Depth=2
	v_or_b32_sdwa v2, v27, s91 dst_sel:DWORD dst_unused:UNUSED_PAD src0_sel:BYTE_3 src1_sel:DWORD
; %bb.320:                              ;   in Loop: Header=BB19_212 Depth=2
	s_or_b64 exec, exec, s[2:3]
	v_lshlrev_b32_e32 v3, 16, v4
	v_div_scale_f32 v11, s[2:3], s71, s71, v3
	v_div_scale_f32 v17, vcc, v3, s71, v3
	v_rcp_f32_e32 v27, v11
	v_fma_f32 v28, -v11, v27, 1.0
	v_fmac_f32_e32 v27, v28, v27
	v_mul_f32_e32 v28, v17, v27
	v_fma_f32 v29, -v11, v28, v17
	v_fmac_f32_e32 v28, v29, v27
	v_fma_f32 v11, -v11, v28, v17
	v_div_fmas_f32 v11, v11, v27, v28
                                        ; implicit-def: $vgpr27_vgpr28
	v_div_fixup_f32 v17, v11, s71, v3
	v_and_b32_e32 v11, 0x7f800000, v17
	v_cmp_ne_u64_e32 vcc, s[46:47], v[11:12]
	s_and_saveexec_b64 s[2:3], vcc
	s_xor_b64 s[10:11], exec, s[2:3]
	s_cbranch_execz .LBB19_336
; %bb.321:                              ;   in Loop: Header=BB19_212 Depth=2
	v_and_b32_e32 v11, 0x7fffffff, v17
	v_cmp_gt_u64_e32 vcc, s[48:49], v[11:12]
	v_and_b32_sdwa v3, v17, s87 dst_sel:DWORD dst_unused:UNUSED_PAD src0_sel:BYTE_3 src1_sel:DWORD
                                        ; implicit-def: $vgpr27_vgpr28
	s_and_saveexec_b64 s[2:3], vcc
	s_xor_b64 s[12:13], exec, s[2:3]
	s_cbranch_execz .LBB19_333
; %bb.322:                              ;   in Loop: Header=BB19_212 Depth=2
	v_mov_b32_e32 v27, 0
	v_cmp_ne_u32_e32 vcc, 0, v17
	v_mov_b32_e32 v28, 0
	s_and_saveexec_b64 s[14:15], vcc
	s_cbranch_execz .LBB19_332
; %bb.323:                              ;   in Loop: Header=BB19_212 Depth=2
	v_and_b32_e32 v11, 0x7fffff, v17
	v_bfe_u32 v17, v17, 23, 8
	v_sub_u32_e32 v27, 0x79, v17
	v_cmp_gt_u32_e32 vcc, s88, v17
	v_cndmask_b32_e32 v27, 0, v27, vcc
	v_cmp_eq_u32_e32 vcc, 0, v17
	v_cndmask_b32_e32 v30, v27, v49, vcc
	v_add_u32_e32 v27, 20, v30
	v_or_b32_e32 v29, 0x800000, v11
	v_lshlrev_b64 v[27:28], v27, -1
	v_cndmask_b32_e32 v11, v29, v11, vcc
	v_bfi_b32 v33, v27, 0, v11
	v_add_u32_e32 v27, 19, v30
	v_bfi_b32 v34, v28, 0, 0
	v_lshlrev_b64 v[51:52], v27, 1
	v_lshrrev_b64 v[27:28], v30, v[11:12]
	v_cmp_eq_u64_e64 s[2:3], v[33:34], v[51:52]
	v_mov_b32_e32 v29, v28
	v_mov_b32_e32 v28, v27
	s_and_saveexec_b64 s[16:17], s[2:3]
; %bb.324:                              ;   in Loop: Header=BB19_212 Depth=2
	v_bfe_u32 v11, v27, 20, 1
	v_add_co_u32_e64 v11, s[2:3], v27, v11
	v_add_co_u32_e64 v28, s[2:3], -1, v11
; %bb.325:                              ;   in Loop: Header=BB19_212 Depth=2
	s_or_b64 exec, exec, s[16:17]
	v_add_u32_e32 v11, 0xffffff81, v17
	v_cndmask_b32_e32 v11, v11, v50, vcc
	v_lshrrev_b32_e32 v17, 23, v27
	v_add3_u32 v30, v30, v11, v17
	v_add_u32_e32 v29, 6, v30
	v_and_b32_e32 v11, 0xfffff, v28
	v_add_u32_e32 v11, v11, v27
	v_cmp_ne_u32_e32 vcc, 0, v29
                                        ; implicit-def: $vgpr27_vgpr28
                                        ; implicit-def: $vgpr17
	s_and_saveexec_b64 s[2:3], vcc
	s_xor_b64 s[2:3], exec, s[2:3]
; %bb.326:                              ;   in Loop: Header=BB19_212 Depth=2
	v_cmp_lt_u64_e32 vcc, s[50:51], v[11:12]
	v_add_u32_e32 v17, 7, v30
	v_cndmask_b32_e64 v27, 0, 1, vcc
	v_lshrrev_b64 v[27:28], v27, v[11:12]
	v_cndmask_b32_e32 v17, v29, v17, vcc
; %bb.327:                              ;   in Loop: Header=BB19_212 Depth=2
	s_andn2_saveexec_b64 s[2:3], s[2:3]
; %bb.328:                              ;   in Loop: Header=BB19_212 Depth=2
	v_mov_b32_e32 v28, v12
	v_bfe_u32 v17, v11, 23, 1
	v_mov_b32_e32 v27, v11
; %bb.329:                              ;   in Loop: Header=BB19_212 Depth=2
	s_or_b64 exec, exec, s[2:3]
	v_lshrrev_b64 v[27:28], 20, v[27:28]
	v_cmp_gt_i32_e32 vcc, 16, v17
	v_cndmask_b32_e32 v30, 0, v28, vcc
	v_cndmask_b32_e32 v29, 7, v27, vcc
	v_cmp_ne_u64_e32 vcc, 0, v[29:30]
	v_cmp_ne_u32_e64 s[2:3], 0, v17
	v_mov_b32_e32 v28, v4
	s_or_b64 s[2:3], s[2:3], vcc
	v_mov_b32_e32 v27, v3
	s_and_saveexec_b64 s[16:17], s[2:3]
	s_xor_b64 s[2:3], exec, s[16:17]
; %bb.330:                              ;   in Loop: Header=BB19_212 Depth=2
	v_min_i32_e32 v11, 15, v17
	v_lshl_or_b32 v3, v11, 3, v3
	v_and_or_b32 v27, v29, 7, v3
; %bb.331:                              ;   in Loop: Header=BB19_212 Depth=2
	s_andn2_saveexec_b64 s[2:3], s[2:3]
	s_or_b64 exec, exec, s[2:3]
.LBB19_332:                             ;   in Loop: Header=BB19_212 Depth=2
	s_or_b64 exec, exec, s[14:15]
                                        ; implicit-def: $vgpr3
.LBB19_333:                             ;   in Loop: Header=BB19_212 Depth=2
	s_andn2_saveexec_b64 s[2:3], s[12:13]
; %bb.334:                              ;   in Loop: Header=BB19_212 Depth=2
	v_or_b32_e32 v27, 0x7e, v3
; %bb.335:                              ;   in Loop: Header=BB19_212 Depth=2
	s_or_b64 exec, exec, s[2:3]
                                        ; implicit-def: $vgpr17
.LBB19_336:                             ;   in Loop: Header=BB19_212 Depth=2
	s_andn2_saveexec_b64 s[2:3], s[10:11]
; %bb.337:                              ;   in Loop: Header=BB19_212 Depth=2
	v_or_b32_sdwa v27, v17, s91 dst_sel:DWORD dst_unused:UNUSED_PAD src0_sel:BYTE_3 src1_sel:DWORD
; %bb.338:                              ;   in Loop: Header=BB19_212 Depth=2
	s_or_b64 exec, exec, s[2:3]
	v_and_b32_e32 v3, 0xffff0000, v4
	v_div_scale_f32 v4, s[2:3], s71, s71, v3
	v_div_scale_f32 v11, vcc, v3, s71, v3
	v_rcp_f32_e32 v17, v4
	v_fma_f32 v28, -v4, v17, 1.0
	v_fmac_f32_e32 v17, v28, v17
	v_mul_f32_e32 v28, v11, v17
	v_fma_f32 v29, -v4, v28, v11
	v_fmac_f32_e32 v28, v29, v17
	v_fma_f32 v4, -v4, v28, v11
	v_div_fmas_f32 v4, v4, v17, v28
                                        ; implicit-def: $vgpr28_vgpr29
	v_div_fixup_f32 v4, v4, s71, v3
	v_and_b32_e32 v11, 0x7f800000, v4
	v_cmp_ne_u64_e32 vcc, s[46:47], v[11:12]
	s_and_saveexec_b64 s[2:3], vcc
	s_xor_b64 s[10:11], exec, s[2:3]
	s_cbranch_execz .LBB19_354
; %bb.339:                              ;   in Loop: Header=BB19_212 Depth=2
	v_and_b32_e32 v11, 0x7fffffff, v4
	v_cmp_gt_u64_e32 vcc, s[48:49], v[11:12]
	v_and_b32_sdwa v3, v4, s87 dst_sel:DWORD dst_unused:UNUSED_PAD src0_sel:BYTE_3 src1_sel:DWORD
                                        ; implicit-def: $vgpr28_vgpr29
	s_and_saveexec_b64 s[2:3], vcc
	s_xor_b64 s[12:13], exec, s[2:3]
	s_cbranch_execz .LBB19_351
; %bb.340:                              ;   in Loop: Header=BB19_212 Depth=2
	v_mov_b32_e32 v28, 0
	v_cmp_ne_u32_e32 vcc, 0, v4
	v_mov_b32_e32 v29, 0
	s_and_saveexec_b64 s[14:15], vcc
	s_cbranch_execz .LBB19_350
; %bb.341:                              ;   in Loop: Header=BB19_212 Depth=2
	v_and_b32_e32 v11, 0x7fffff, v4
	v_bfe_u32 v4, v4, 23, 8
	v_sub_u32_e32 v17, 0x79, v4
	v_cmp_gt_u32_e32 vcc, s88, v4
	v_cndmask_b32_e32 v17, 0, v17, vcc
	v_cmp_eq_u32_e32 vcc, 0, v4
	v_cndmask_b32_e32 v17, v17, v49, vcc
	v_add_u32_e32 v28, 20, v17
	v_or_b32_e32 v30, 0x800000, v11
	v_lshlrev_b64 v[28:29], v28, -1
	v_cndmask_b32_e32 v11, v30, v11, vcc
	v_bfi_b32 v30, v28, 0, v11
	v_add_u32_e32 v28, 19, v17
	v_bfi_b32 v31, v29, 0, 0
	v_lshlrev_b64 v[33:34], v28, 1
	v_lshrrev_b64 v[28:29], v17, v[11:12]
	v_cmp_eq_u64_e64 s[2:3], v[30:31], v[33:34]
	v_mov_b32_e32 v30, v29
	v_mov_b32_e32 v29, v28
	s_and_saveexec_b64 s[16:17], s[2:3]
; %bb.342:                              ;   in Loop: Header=BB19_212 Depth=2
	v_bfe_u32 v11, v28, 20, 1
	v_add_co_u32_e64 v11, s[2:3], v28, v11
	v_add_co_u32_e64 v29, s[2:3], -1, v11
; %bb.343:                              ;   in Loop: Header=BB19_212 Depth=2
	s_or_b64 exec, exec, s[16:17]
	v_add_u32_e32 v4, 0xffffff81, v4
	v_cndmask_b32_e32 v4, v4, v50, vcc
	v_lshrrev_b32_e32 v11, 23, v28
	v_add3_u32 v30, v17, v4, v11
	v_add_u32_e32 v17, 6, v30
	v_and_b32_e32 v4, 0xfffff, v29
	v_add_u32_e32 v11, v4, v28
	v_cmp_ne_u32_e32 vcc, 0, v17
                                        ; implicit-def: $vgpr28_vgpr29
                                        ; implicit-def: $vgpr4
	s_and_saveexec_b64 s[2:3], vcc
	s_xor_b64 s[2:3], exec, s[2:3]
; %bb.344:                              ;   in Loop: Header=BB19_212 Depth=2
	v_cmp_lt_u64_e32 vcc, s[50:51], v[11:12]
	v_add_u32_e32 v4, 7, v30
	v_cndmask_b32_e32 v4, v17, v4, vcc
	v_cndmask_b32_e64 v17, 0, 1, vcc
	v_lshrrev_b64 v[28:29], v17, v[11:12]
; %bb.345:                              ;   in Loop: Header=BB19_212 Depth=2
	s_andn2_saveexec_b64 s[2:3], s[2:3]
; %bb.346:                              ;   in Loop: Header=BB19_212 Depth=2
	v_mov_b32_e32 v29, v12
	v_bfe_u32 v4, v11, 23, 1
	v_mov_b32_e32 v28, v11
; %bb.347:                              ;   in Loop: Header=BB19_212 Depth=2
	s_or_b64 exec, exec, s[2:3]
	v_lshrrev_b64 v[28:29], 20, v[28:29]
	v_cmp_gt_i32_e32 vcc, 16, v4
	v_cndmask_b32_e32 v31, 0, v29, vcc
	v_cndmask_b32_e32 v30, 7, v28, vcc
	v_cmp_ne_u64_e32 vcc, 0, v[30:31]
	v_cmp_ne_u32_e64 s[2:3], 0, v4
	v_mov_b32_e32 v29, v4
	s_or_b64 s[2:3], s[2:3], vcc
	v_mov_b32_e32 v28, v3
	s_and_saveexec_b64 s[16:17], s[2:3]
	s_xor_b64 s[2:3], exec, s[16:17]
; %bb.348:                              ;   in Loop: Header=BB19_212 Depth=2
	v_min_i32_e32 v4, 15, v4
	v_lshl_or_b32 v3, v4, 3, v3
	v_and_or_b32 v28, v30, 7, v3
; %bb.349:                              ;   in Loop: Header=BB19_212 Depth=2
	s_andn2_saveexec_b64 s[2:3], s[2:3]
	s_or_b64 exec, exec, s[2:3]
.LBB19_350:                             ;   in Loop: Header=BB19_212 Depth=2
	s_or_b64 exec, exec, s[14:15]
                                        ; implicit-def: $vgpr3
.LBB19_351:                             ;   in Loop: Header=BB19_212 Depth=2
	s_andn2_saveexec_b64 s[2:3], s[12:13]
; %bb.352:                              ;   in Loop: Header=BB19_212 Depth=2
	v_or_b32_e32 v28, 0x7e, v3
; %bb.353:                              ;   in Loop: Header=BB19_212 Depth=2
	s_or_b64 exec, exec, s[2:3]
                                        ; implicit-def: $vgpr4
.LBB19_354:                             ;   in Loop: Header=BB19_212 Depth=2
	s_andn2_saveexec_b64 s[2:3], s[10:11]
	s_cbranch_execz .LBB19_211
; %bb.355:                              ;   in Loop: Header=BB19_212 Depth=2
	v_or_b32_sdwa v28, v4, s91 dst_sel:DWORD dst_unused:UNUSED_PAD src0_sel:BYTE_3 src1_sel:DWORD
	s_branch .LBB19_211
.LBB19_356:                             ;   in Loop: Header=BB19_9 Depth=1
	s_or_b64 exec, exec, s[6:7]
.LBB19_357:                             ;   in Loop: Header=BB19_9 Depth=1
	s_or_b64 exec, exec, s[4:5]
	v_mov_b32_e32 v1, s68
	v_add_co_u32_e32 v32, vcc, s67, v18
	v_addc_co_u32_e32 v33, vcc, v1, v19, vcc
	v_and_b32_e32 v11, 15, v32
	v_cmp_ne_u64_e32 vcc, 0, v[11:12]
	s_or_b64 s[2:3], s[38:39], vcc
	s_and_saveexec_b64 s[4:5], s[2:3]
	s_xor_b64 s[54:55], exec, s[4:5]
	s_cbranch_execz .LBB19_556
; %bb.358:                              ;   in Loop: Header=BB19_9 Depth=1
	v_mov_b32_e32 v1, s70
	v_add_co_u32_e32 v34, vcc, s69, v15
	v_addc_co_u32_e32 v35, vcc, v1, v16, vcc
	v_sub_u32_e32 v1, 0, v32
	v_bfe_u32 v1, v1, 1, 3
	v_min_i32_e32 v15, s45, v1
	v_cmp_lt_i32_e32 vcc, v37, v15
	s_and_saveexec_b64 s[4:5], vcc
	s_cbranch_execz .LBB19_380
; %bb.359:                              ;   in Loop: Header=BB19_9 Depth=1
	v_lshlrev_b32_e32 v1, 1, v37
	v_add_co_u32_e32 v1, vcc, v32, v1
	v_addc_co_u32_e32 v2, vcc, 0, v33, vcc
	global_load_ushort v1, v[1:2], off
	s_waitcnt vmcnt(0)
	v_lshlrev_b32_e32 v1, 16, v1
	v_div_scale_f32 v2, s[2:3], s33, s33, v1
	v_div_scale_f32 v3, vcc, v1, s33, v1
	v_rcp_f32_e32 v4, v2
	v_fma_f32 v10, -v2, v4, 1.0
	v_fmac_f32_e32 v4, v10, v4
	v_mul_f32_e32 v10, v3, v4
	v_fma_f32 v11, -v2, v10, v3
	v_fmac_f32_e32 v10, v11, v4
	v_fma_f32 v2, -v2, v10, v3
	v_div_fmas_f32 v2, v2, v4, v10
	v_div_fixup_f32 v1, v2, s33, v1
	v_and_b32_e32 v11, 0x7f800000, v1
	v_cmp_ne_u64_e32 vcc, s[46:47], v[11:12]
                                        ; implicit-def: $vgpr2
	s_and_saveexec_b64 s[2:3], vcc
	s_xor_b64 s[6:7], exec, s[2:3]
	s_cbranch_execz .LBB19_377
; %bb.360:                              ;   in Loop: Header=BB19_9 Depth=1
	v_and_b32_e32 v11, 0x7fffffff, v1
	v_cmp_gt_u64_e32 vcc, s[48:49], v[11:12]
	v_and_b32_sdwa v4, v1, s87 dst_sel:DWORD dst_unused:UNUSED_PAD src0_sel:BYTE_3 src1_sel:DWORD
                                        ; implicit-def: $vgpr2
	s_and_saveexec_b64 s[2:3], vcc
	s_xor_b64 s[8:9], exec, s[2:3]
	s_cbranch_execz .LBB19_374
; %bb.361:                              ;   in Loop: Header=BB19_9 Depth=1
	v_cmp_ne_u32_e32 vcc, 0, v1
	v_mov_b32_e32 v2, 0
	s_and_saveexec_b64 s[10:11], vcc
	s_cbranch_execz .LBB19_373
; %bb.362:                              ;   in Loop: Header=BB19_9 Depth=1
	v_bfe_u32 v10, v1, 23, 8
	v_and_b32_e32 v3, 0x7fffff, v1
	v_sub_u32_e32 v1, 0x79, v10
	v_cmp_gt_u32_e32 vcc, s88, v10
	v_cndmask_b32_e32 v1, 0, v1, vcc
	v_cmp_eq_u32_e32 vcc, 0, v10
	v_cndmask_b32_e32 v16, v1, v49, vcc
	v_add_u32_e32 v1, 20, v16
	v_or_b32_e32 v11, 0x800000, v3
	v_lshlrev_b64 v[1:2], v1, -1
	v_cndmask_b32_e32 v11, v11, v3, vcc
	v_bfi_b32 v17, v1, 0, v11
	v_add_u32_e32 v1, 19, v16
	v_bfi_b32 v18, v2, 0, 0
	v_lshlrev_b64 v[19:20], v1, 1
	v_lshrrev_b64 v[1:2], v16, v[11:12]
	v_cmp_eq_u64_e64 s[2:3], v[17:18], v[19:20]
	v_mov_b32_e32 v3, v2
	v_mov_b32_e32 v2, v1
	s_and_saveexec_b64 s[12:13], s[2:3]
; %bb.363:                              ;   in Loop: Header=BB19_9 Depth=1
	v_bfe_u32 v2, v1, 20, 1
	v_add_co_u32_e64 v2, s[2:3], v1, v2
	v_add_co_u32_e64 v2, s[2:3], -1, v2
; %bb.364:                              ;   in Loop: Header=BB19_9 Depth=1
	s_or_b64 exec, exec, s[12:13]
	v_add_u32_e32 v3, 0xffffff81, v10
	v_cndmask_b32_e32 v3, v3, v50, vcc
	v_lshrrev_b32_e32 v10, 23, v1
	v_add3_u32 v16, v16, v3, v10
	v_add_u32_e32 v10, 6, v16
	v_and_b32_e32 v2, 0xfffff, v2
	v_add_u32_e32 v11, v2, v1
	v_cmp_ne_u32_e32 vcc, 0, v10
                                        ; implicit-def: $vgpr1_vgpr2
                                        ; implicit-def: $vgpr3
	s_and_saveexec_b64 s[2:3], vcc
	s_xor_b64 s[2:3], exec, s[2:3]
; %bb.365:                              ;   in Loop: Header=BB19_9 Depth=1
	v_cmp_lt_u64_e32 vcc, s[50:51], v[11:12]
	v_add_u32_e32 v1, 7, v16
	v_cndmask_b32_e32 v3, v10, v1, vcc
	v_cndmask_b32_e64 v1, 0, 1, vcc
	v_lshrrev_b64 v[1:2], v1, v[11:12]
; %bb.366:                              ;   in Loop: Header=BB19_9 Depth=1
	s_andn2_saveexec_b64 s[2:3], s[2:3]
; %bb.367:                              ;   in Loop: Header=BB19_9 Depth=1
	v_mov_b32_e32 v1, v11
	v_bfe_u32 v3, v11, 23, 1
	v_mov_b32_e32 v2, v12
; %bb.368:                              ;   in Loop: Header=BB19_9 Depth=1
	s_or_b64 exec, exec, s[2:3]
	v_lshrrev_b64 v[1:2], 20, v[1:2]
	v_cmp_gt_i32_e32 vcc, 16, v3
	v_cndmask_b32_e32 v2, 0, v2, vcc
	v_cndmask_b32_e32 v1, 7, v1, vcc
	v_cmp_ne_u64_e32 vcc, 0, v[1:2]
	v_cmp_ne_u32_e64 s[2:3], 0, v3
	s_or_b64 s[2:3], s[2:3], vcc
                                        ; implicit-def: $vgpr2
	s_and_saveexec_b64 s[12:13], s[2:3]
	s_xor_b64 s[2:3], exec, s[12:13]
; %bb.369:                              ;   in Loop: Header=BB19_9 Depth=1
	v_min_i32_e32 v2, 15, v3
	v_lshl_or_b32 v2, v2, 3, v4
	v_and_or_b32 v2, v1, 7, v2
                                        ; implicit-def: $vgpr4
; %bb.370:                              ;   in Loop: Header=BB19_9 Depth=1
	s_andn2_saveexec_b64 s[2:3], s[2:3]
; %bb.371:                              ;   in Loop: Header=BB19_9 Depth=1
	v_mov_b32_e32 v2, v4
; %bb.372:                              ;   in Loop: Header=BB19_9 Depth=1
	s_or_b64 exec, exec, s[2:3]
.LBB19_373:                             ;   in Loop: Header=BB19_9 Depth=1
	s_or_b64 exec, exec, s[10:11]
                                        ; implicit-def: $vgpr4
.LBB19_374:                             ;   in Loop: Header=BB19_9 Depth=1
	s_andn2_saveexec_b64 s[2:3], s[8:9]
; %bb.375:                              ;   in Loop: Header=BB19_9 Depth=1
	v_or_b32_e32 v2, 0x7e, v4
; %bb.376:                              ;   in Loop: Header=BB19_9 Depth=1
	s_or_b64 exec, exec, s[2:3]
                                        ; implicit-def: $vgpr1
.LBB19_377:                             ;   in Loop: Header=BB19_9 Depth=1
	s_andn2_saveexec_b64 s[2:3], s[6:7]
; %bb.378:                              ;   in Loop: Header=BB19_9 Depth=1
	v_or_b32_sdwa v2, v1, s91 dst_sel:DWORD dst_unused:UNUSED_PAD src0_sel:BYTE_3 src1_sel:DWORD
; %bb.379:                              ;   in Loop: Header=BB19_9 Depth=1
	s_or_b64 exec, exec, s[2:3]
	v_add_co_u32_e32 v3, vcc, v34, v37
	v_addc_co_u32_e32 v4, vcc, 0, v35, vcc
	global_store_byte v[3:4], v2, off
.LBB19_380:                             ;   in Loop: Header=BB19_9 Depth=1
	s_or_b64 exec, exec, s[4:5]
	v_sub_u32_e32 v31, s45, v15
	v_ashrrev_i32_e32 v1, 31, v31
	v_lshrrev_b32_e32 v1, 29, v1
	v_ashrrev_i32_e32 v16, 31, v15
	v_add_u32_e32 v1, v31, v1
	v_ashrrev_i32_e32 v51, 3, v1
	v_lshlrev_b64 v[17:18], 1, v[15:16]
	v_cmp_lt_i32_e32 vcc, v37, v51
	s_and_saveexec_b64 s[4:5], vcc
	s_cbranch_execz .LBB19_527
; %bb.381:                              ;   in Loop: Header=BB19_9 Depth=1
	v_add_co_u32_e32 v19, vcc, v7, v15
	v_addc_co_u32_e32 v20, vcc, v8, v16, vcc
	v_add_co_u32_e32 v1, vcc, v17, v13
	v_addc_co_u32_e32 v2, vcc, v18, v14, vcc
	s_waitcnt vmcnt(2)
	v_add_co_u32_e32 v21, vcc, v48, v1
	s_waitcnt vmcnt(1)
	v_addc_co_u32_e32 v22, vcc, v60, v2, vcc
	s_mov_b64 s[6:7], 0
	v_mov_b32_e32 v52, v37
	s_branch .LBB19_383
.LBB19_382:                             ;   in Loop: Header=BB19_383 Depth=2
	s_or_b64 exec, exec, s[2:3]
	v_lshlrev_b32_e32 v4, 16, v26
	v_lshlrev_b32_e32 v3, 24, v27
	v_and_b32_e32 v4, 0xff0000, v4
	v_lshlrev_b32_e32 v2, 8, v2
	v_or_b32_e32 v3, v3, v4
	v_and_b32_e32 v2, 0xff00, v2
	v_and_b32_e32 v4, 0xff, v25
	v_or3_b32 v2, v3, v2, v4
	v_lshlrev_b32_e32 v3, 16, v24
	v_lshlrev_b32_e32 v4, 8, v23
	v_perm_b32 v1, v1, v3, s93
	v_and_or_b32 v1, v4, s92, v1
	v_or_b32_sdwa v1, v1, v10 dst_sel:DWORD dst_unused:UNUSED_PAD src0_sel:DWORD src1_sel:BYTE_0
	global_store_dwordx2 v[19:20], v[1:2], off
	v_add_co_u32_e32 v19, vcc, 0x100, v19
	v_add_u32_e32 v52, 32, v52
	v_addc_co_u32_e32 v20, vcc, 0, v20, vcc
	v_add_co_u32_e32 v21, vcc, 0x200, v21
	v_cmp_ge_i32_e64 s[2:3], v52, v51
	s_or_b64 s[6:7], s[2:3], s[6:7]
	v_addc_co_u32_e32 v22, vcc, 0, v22, vcc
	s_andn2_b64 exec, exec, s[6:7]
	s_cbranch_execz .LBB19_527
.LBB19_383:                             ;   Parent Loop BB19_9 Depth=1
                                        ; =>  This Inner Loop Header: Depth=2
	global_load_dwordx4 v[1:4], v[21:22], off
	s_waitcnt vmcnt(0)
	v_lshlrev_b32_e32 v10, 16, v1
	v_div_scale_f32 v11, s[2:3], s33, s33, v10
	v_div_scale_f32 v23, vcc, v10, s33, v10
	v_rcp_f32_e32 v24, v11
	v_fma_f32 v25, -v11, v24, 1.0
	v_fmac_f32_e32 v24, v25, v24
	v_mul_f32_e32 v25, v23, v24
	v_fma_f32 v26, -v11, v25, v23
	v_fmac_f32_e32 v25, v26, v24
	v_fma_f32 v11, -v11, v25, v23
	v_div_fmas_f32 v11, v11, v24, v25
	v_div_fixup_f32 v24, v11, s33, v10
	v_and_b32_e32 v11, 0x7f800000, v24
	v_cmp_ne_u64_e32 vcc, s[46:47], v[11:12]
                                        ; implicit-def: $vgpr10_vgpr11
	s_and_saveexec_b64 s[2:3], vcc
	s_xor_b64 s[8:9], exec, s[2:3]
	s_cbranch_execz .LBB19_399
; %bb.384:                              ;   in Loop: Header=BB19_383 Depth=2
	v_and_b32_e32 v11, 0x7fffffff, v24
	v_cmp_gt_u64_e32 vcc, s[48:49], v[11:12]
	v_and_b32_sdwa v23, v24, s87 dst_sel:DWORD dst_unused:UNUSED_PAD src0_sel:BYTE_3 src1_sel:DWORD
                                        ; implicit-def: $vgpr10_vgpr11
	s_and_saveexec_b64 s[2:3], vcc
	s_xor_b64 s[10:11], exec, s[2:3]
	s_cbranch_execz .LBB19_396
; %bb.385:                              ;   in Loop: Header=BB19_383 Depth=2
	v_mov_b32_e32 v10, 0
	v_cmp_ne_u32_e32 vcc, 0, v24
	v_mov_b32_e32 v11, 0
	s_and_saveexec_b64 s[12:13], vcc
	s_cbranch_execz .LBB19_395
; %bb.386:                              ;   in Loop: Header=BB19_383 Depth=2
	v_bfe_u32 v26, v24, 23, 8
	v_sub_u32_e32 v11, 0x79, v26
	v_cmp_gt_u32_e32 vcc, s88, v26
	v_cndmask_b32_e32 v11, 0, v11, vcc
	v_cmp_eq_u32_e32 vcc, 0, v26
	v_cndmask_b32_e32 v27, v11, v49, vcc
	v_and_b32_e32 v10, 0x7fffff, v24
	v_add_u32_e32 v11, 20, v27
	v_or_b32_e32 v28, 0x800000, v10
	v_lshlrev_b64 v[24:25], v11, -1
	v_cndmask_b32_e32 v11, v28, v10, vcc
	v_add_u32_e32 v10, 19, v27
	v_bfi_b32 v24, v24, 0, v11
	v_lshlrev_b64 v[28:29], v10, 1
	v_lshrrev_b64 v[10:11], v27, v[11:12]
	v_bfi_b32 v25, v25, 0, 0
	v_cmp_eq_u64_e64 s[2:3], v[24:25], v[28:29]
	v_mov_b32_e32 v25, v11
	v_mov_b32_e32 v24, v10
	s_and_saveexec_b64 s[14:15], s[2:3]
; %bb.387:                              ;   in Loop: Header=BB19_383 Depth=2
	v_bfe_u32 v11, v10, 20, 1
	v_add_co_u32_e64 v11, s[2:3], v10, v11
	v_add_co_u32_e64 v24, s[2:3], -1, v11
; %bb.388:                              ;   in Loop: Header=BB19_383 Depth=2
	s_or_b64 exec, exec, s[14:15]
	v_add_u32_e32 v11, 0xffffff81, v26
	v_cndmask_b32_e32 v11, v11, v50, vcc
	v_lshrrev_b32_e32 v25, 23, v10
	v_add3_u32 v28, v27, v11, v25
	v_add_u32_e32 v27, 6, v28
	v_and_b32_e32 v11, 0xfffff, v24
	v_add_u32_e32 v11, v11, v10
	v_cmp_ne_u32_e32 vcc, 0, v27
                                        ; implicit-def: $vgpr24_vgpr25
                                        ; implicit-def: $vgpr26
	s_and_saveexec_b64 s[2:3], vcc
	s_xor_b64 s[2:3], exec, s[2:3]
; %bb.389:                              ;   in Loop: Header=BB19_383 Depth=2
	v_cmp_lt_u64_e32 vcc, s[50:51], v[11:12]
	v_add_u32_e32 v10, 7, v28
	v_cndmask_b32_e32 v26, v27, v10, vcc
	v_cndmask_b32_e64 v10, 0, 1, vcc
	v_lshrrev_b64 v[24:25], v10, v[11:12]
; %bb.390:                              ;   in Loop: Header=BB19_383 Depth=2
	s_andn2_saveexec_b64 s[2:3], s[2:3]
; %bb.391:                              ;   in Loop: Header=BB19_383 Depth=2
	v_mov_b32_e32 v25, v12
	v_bfe_u32 v26, v11, 23, 1
	v_mov_b32_e32 v24, v11
; %bb.392:                              ;   in Loop: Header=BB19_383 Depth=2
	s_or_b64 exec, exec, s[2:3]
	v_lshrrev_b64 v[10:11], 20, v[24:25]
	v_cmp_gt_i32_e32 vcc, 16, v26
	v_cndmask_b32_e32 v25, 0, v11, vcc
	v_cndmask_b32_e32 v24, 7, v10, vcc
	v_cmp_ne_u64_e32 vcc, 0, v[24:25]
	v_cmp_ne_u32_e64 s[2:3], 0, v26
	s_or_b64 s[2:3], s[2:3], vcc
	v_mov_b32_e32 v10, v23
	v_mov_b32_e32 v11, v24
	s_and_saveexec_b64 s[14:15], s[2:3]
	s_xor_b64 s[2:3], exec, s[14:15]
; %bb.393:                              ;   in Loop: Header=BB19_383 Depth=2
	v_min_i32_e32 v10, 15, v26
	v_lshl_or_b32 v10, v10, 3, v23
	v_and_or_b32 v10, v24, 7, v10
; %bb.394:                              ;   in Loop: Header=BB19_383 Depth=2
	s_andn2_saveexec_b64 s[2:3], s[2:3]
	s_or_b64 exec, exec, s[2:3]
.LBB19_395:                             ;   in Loop: Header=BB19_383 Depth=2
	s_or_b64 exec, exec, s[12:13]
                                        ; implicit-def: $vgpr23
.LBB19_396:                             ;   in Loop: Header=BB19_383 Depth=2
	s_andn2_saveexec_b64 s[2:3], s[10:11]
; %bb.397:                              ;   in Loop: Header=BB19_383 Depth=2
	v_or_b32_e32 v10, 0x7e, v23
; %bb.398:                              ;   in Loop: Header=BB19_383 Depth=2
	s_or_b64 exec, exec, s[2:3]
                                        ; implicit-def: $vgpr24
.LBB19_399:                             ;   in Loop: Header=BB19_383 Depth=2
	s_andn2_saveexec_b64 s[2:3], s[8:9]
; %bb.400:                              ;   in Loop: Header=BB19_383 Depth=2
	v_or_b32_sdwa v10, v24, s91 dst_sel:DWORD dst_unused:UNUSED_PAD src0_sel:BYTE_3 src1_sel:DWORD
; %bb.401:                              ;   in Loop: Header=BB19_383 Depth=2
	s_or_b64 exec, exec, s[2:3]
	v_and_b32_e32 v1, 0xffff0000, v1
	v_div_scale_f32 v11, s[2:3], s33, s33, v1
	v_div_scale_f32 v23, vcc, v1, s33, v1
	v_rcp_f32_e32 v24, v11
	v_fma_f32 v25, -v11, v24, 1.0
	v_fmac_f32_e32 v24, v25, v24
	v_mul_f32_e32 v25, v23, v24
	v_fma_f32 v26, -v11, v25, v23
	v_fmac_f32_e32 v25, v26, v24
	v_fma_f32 v11, -v11, v25, v23
	v_div_fmas_f32 v11, v11, v24, v25
                                        ; implicit-def: $vgpr23_vgpr24
	v_div_fixup_f32 v25, v11, s33, v1
	v_and_b32_e32 v11, 0x7f800000, v25
	v_cmp_ne_u64_e32 vcc, s[46:47], v[11:12]
	s_and_saveexec_b64 s[2:3], vcc
	s_xor_b64 s[8:9], exec, s[2:3]
	s_cbranch_execz .LBB19_417
; %bb.402:                              ;   in Loop: Header=BB19_383 Depth=2
	v_and_b32_e32 v11, 0x7fffffff, v25
	v_cmp_gt_u64_e32 vcc, s[48:49], v[11:12]
	v_and_b32_sdwa v1, v25, s87 dst_sel:DWORD dst_unused:UNUSED_PAD src0_sel:BYTE_3 src1_sel:DWORD
                                        ; implicit-def: $vgpr23_vgpr24
	s_and_saveexec_b64 s[2:3], vcc
	s_xor_b64 s[10:11], exec, s[2:3]
	s_cbranch_execz .LBB19_414
; %bb.403:                              ;   in Loop: Header=BB19_383 Depth=2
	v_mov_b32_e32 v23, 0
	v_cmp_ne_u32_e32 vcc, 0, v25
	v_mov_b32_e32 v24, 0
	s_and_saveexec_b64 s[12:13], vcc
	s_cbranch_execz .LBB19_413
; %bb.404:                              ;   in Loop: Header=BB19_383 Depth=2
	v_bfe_u32 v26, v25, 23, 8
	v_sub_u32_e32 v23, 0x79, v26
	v_cmp_gt_u32_e32 vcc, s88, v26
	v_cndmask_b32_e32 v23, 0, v23, vcc
	v_cmp_eq_u32_e32 vcc, 0, v26
	v_cndmask_b32_e32 v27, v23, v49, vcc
	v_and_b32_e32 v11, 0x7fffff, v25
	v_add_u32_e32 v23, 20, v27
	v_or_b32_e32 v25, 0x800000, v11
	v_lshlrev_b64 v[23:24], v23, -1
	v_cndmask_b32_e32 v11, v25, v11, vcc
	v_bfi_b32 v28, v23, 0, v11
	v_add_u32_e32 v23, 19, v27
	v_bfi_b32 v29, v24, 0, 0
	v_lshlrev_b64 v[38:39], v23, 1
	v_lshrrev_b64 v[23:24], v27, v[11:12]
	v_cmp_eq_u64_e64 s[2:3], v[28:29], v[38:39]
	v_mov_b32_e32 v25, v24
	v_mov_b32_e32 v24, v23
	s_and_saveexec_b64 s[14:15], s[2:3]
; %bb.405:                              ;   in Loop: Header=BB19_383 Depth=2
	v_bfe_u32 v11, v23, 20, 1
	v_add_co_u32_e64 v11, s[2:3], v23, v11
	v_add_co_u32_e64 v24, s[2:3], -1, v11
; %bb.406:                              ;   in Loop: Header=BB19_383 Depth=2
	s_or_b64 exec, exec, s[14:15]
	v_add_u32_e32 v11, 0xffffff81, v26
	v_cndmask_b32_e32 v11, v11, v50, vcc
	v_lshrrev_b32_e32 v25, 23, v23
	v_add3_u32 v26, v27, v11, v25
	v_add_u32_e32 v25, 6, v26
	v_and_b32_e32 v11, 0xfffff, v24
	v_add_u32_e32 v11, v11, v23
	v_cmp_ne_u32_e32 vcc, 0, v25
                                        ; implicit-def: $vgpr23_vgpr24
                                        ; implicit-def: $vgpr27
	s_and_saveexec_b64 s[2:3], vcc
	s_xor_b64 s[2:3], exec, s[2:3]
; %bb.407:                              ;   in Loop: Header=BB19_383 Depth=2
	v_cmp_lt_u64_e32 vcc, s[50:51], v[11:12]
	v_add_u32_e32 v23, 7, v26
	v_cndmask_b32_e32 v27, v25, v23, vcc
	v_cndmask_b32_e64 v23, 0, 1, vcc
	v_lshrrev_b64 v[23:24], v23, v[11:12]
; %bb.408:                              ;   in Loop: Header=BB19_383 Depth=2
	s_andn2_saveexec_b64 s[2:3], s[2:3]
; %bb.409:                              ;   in Loop: Header=BB19_383 Depth=2
	v_mov_b32_e32 v24, v12
	v_bfe_u32 v27, v11, 23, 1
	v_mov_b32_e32 v23, v11
; %bb.410:                              ;   in Loop: Header=BB19_383 Depth=2
	s_or_b64 exec, exec, s[2:3]
	v_lshrrev_b64 v[23:24], 20, v[23:24]
	v_cmp_gt_i32_e32 vcc, 16, v27
	v_cndmask_b32_e32 v26, 0, v24, vcc
	v_cndmask_b32_e32 v25, 7, v23, vcc
	v_cmp_ne_u64_e32 vcc, 0, v[25:26]
	v_cmp_ne_u32_e64 s[2:3], 0, v27
	v_mov_b32_e32 v24, v2
	s_or_b64 s[2:3], s[2:3], vcc
	v_mov_b32_e32 v23, v1
	s_and_saveexec_b64 s[14:15], s[2:3]
	s_xor_b64 s[2:3], exec, s[14:15]
; %bb.411:                              ;   in Loop: Header=BB19_383 Depth=2
	v_min_i32_e32 v11, 15, v27
	v_lshl_or_b32 v1, v11, 3, v1
	v_and_or_b32 v23, v25, 7, v1
; %bb.412:                              ;   in Loop: Header=BB19_383 Depth=2
	s_andn2_saveexec_b64 s[2:3], s[2:3]
	s_or_b64 exec, exec, s[2:3]
.LBB19_413:                             ;   in Loop: Header=BB19_383 Depth=2
	s_or_b64 exec, exec, s[12:13]
                                        ; implicit-def: $vgpr1
.LBB19_414:                             ;   in Loop: Header=BB19_383 Depth=2
	s_andn2_saveexec_b64 s[2:3], s[10:11]
; %bb.415:                              ;   in Loop: Header=BB19_383 Depth=2
	v_or_b32_e32 v23, 0x7e, v1
; %bb.416:                              ;   in Loop: Header=BB19_383 Depth=2
	s_or_b64 exec, exec, s[2:3]
                                        ; implicit-def: $vgpr25
.LBB19_417:                             ;   in Loop: Header=BB19_383 Depth=2
	s_andn2_saveexec_b64 s[2:3], s[8:9]
; %bb.418:                              ;   in Loop: Header=BB19_383 Depth=2
	v_or_b32_sdwa v23, v25, s91 dst_sel:DWORD dst_unused:UNUSED_PAD src0_sel:BYTE_3 src1_sel:DWORD
; %bb.419:                              ;   in Loop: Header=BB19_383 Depth=2
	s_or_b64 exec, exec, s[2:3]
	v_lshlrev_b32_e32 v1, 16, v2
	v_div_scale_f32 v11, s[2:3], s33, s33, v1
	v_div_scale_f32 v24, vcc, v1, s33, v1
	v_rcp_f32_e32 v25, v11
	v_fma_f32 v26, -v11, v25, 1.0
	v_fmac_f32_e32 v25, v26, v25
	v_mul_f32_e32 v26, v24, v25
	v_fma_f32 v27, -v11, v26, v24
	v_fmac_f32_e32 v26, v27, v25
	v_fma_f32 v11, -v11, v26, v24
	v_div_fmas_f32 v11, v11, v25, v26
                                        ; implicit-def: $vgpr24_vgpr25
	v_div_fixup_f32 v26, v11, s33, v1
	v_and_b32_e32 v11, 0x7f800000, v26
	v_cmp_ne_u64_e32 vcc, s[46:47], v[11:12]
	s_and_saveexec_b64 s[2:3], vcc
	s_xor_b64 s[8:9], exec, s[2:3]
	s_cbranch_execz .LBB19_435
; %bb.420:                              ;   in Loop: Header=BB19_383 Depth=2
	v_and_b32_e32 v11, 0x7fffffff, v26
	v_cmp_gt_u64_e32 vcc, s[48:49], v[11:12]
	v_and_b32_sdwa v1, v26, s87 dst_sel:DWORD dst_unused:UNUSED_PAD src0_sel:BYTE_3 src1_sel:DWORD
                                        ; implicit-def: $vgpr24_vgpr25
	s_and_saveexec_b64 s[2:3], vcc
	s_xor_b64 s[10:11], exec, s[2:3]
	s_cbranch_execz .LBB19_432
; %bb.421:                              ;   in Loop: Header=BB19_383 Depth=2
	v_mov_b32_e32 v24, 0
	v_cmp_ne_u32_e32 vcc, 0, v26
	v_mov_b32_e32 v25, 0
	s_and_saveexec_b64 s[12:13], vcc
	s_cbranch_execz .LBB19_431
; %bb.422:                              ;   in Loop: Header=BB19_383 Depth=2
	v_bfe_u32 v27, v26, 23, 8
	v_sub_u32_e32 v24, 0x79, v27
	v_cmp_gt_u32_e32 vcc, s88, v27
	v_cndmask_b32_e32 v24, 0, v24, vcc
	v_cmp_eq_u32_e32 vcc, 0, v27
	v_cndmask_b32_e32 v28, v24, v49, vcc
	v_and_b32_e32 v11, 0x7fffff, v26
	v_add_u32_e32 v24, 20, v28
	v_or_b32_e32 v26, 0x800000, v11
	v_lshlrev_b64 v[24:25], v24, -1
	v_cndmask_b32_e32 v11, v26, v11, vcc
	v_bfi_b32 v29, v24, 0, v11
	v_add_u32_e32 v24, 19, v28
	v_bfi_b32 v30, v25, 0, 0
	v_lshlrev_b64 v[38:39], v24, 1
	v_lshrrev_b64 v[24:25], v28, v[11:12]
	v_cmp_eq_u64_e64 s[2:3], v[29:30], v[38:39]
	v_mov_b32_e32 v26, v25
	v_mov_b32_e32 v25, v24
	s_and_saveexec_b64 s[14:15], s[2:3]
; %bb.423:                              ;   in Loop: Header=BB19_383 Depth=2
	v_bfe_u32 v11, v24, 20, 1
	v_add_co_u32_e64 v11, s[2:3], v24, v11
	v_add_co_u32_e64 v25, s[2:3], -1, v11
; %bb.424:                              ;   in Loop: Header=BB19_383 Depth=2
	s_or_b64 exec, exec, s[14:15]
	v_add_u32_e32 v11, 0xffffff81, v27
	v_cndmask_b32_e32 v11, v11, v50, vcc
	v_lshrrev_b32_e32 v26, 23, v24
	v_add3_u32 v27, v28, v11, v26
	v_add_u32_e32 v26, 6, v27
	v_and_b32_e32 v11, 0xfffff, v25
	v_add_u32_e32 v11, v11, v24
	v_cmp_ne_u32_e32 vcc, 0, v26
                                        ; implicit-def: $vgpr24_vgpr25
                                        ; implicit-def: $vgpr28
	s_and_saveexec_b64 s[2:3], vcc
	s_xor_b64 s[2:3], exec, s[2:3]
; %bb.425:                              ;   in Loop: Header=BB19_383 Depth=2
	v_cmp_lt_u64_e32 vcc, s[50:51], v[11:12]
	v_add_u32_e32 v24, 7, v27
	v_cndmask_b32_e32 v28, v26, v24, vcc
	v_cndmask_b32_e64 v24, 0, 1, vcc
	v_lshrrev_b64 v[24:25], v24, v[11:12]
; %bb.426:                              ;   in Loop: Header=BB19_383 Depth=2
	s_andn2_saveexec_b64 s[2:3], s[2:3]
; %bb.427:                              ;   in Loop: Header=BB19_383 Depth=2
	v_mov_b32_e32 v25, v12
	v_bfe_u32 v28, v11, 23, 1
	v_mov_b32_e32 v24, v11
; %bb.428:                              ;   in Loop: Header=BB19_383 Depth=2
	s_or_b64 exec, exec, s[2:3]
	v_lshrrev_b64 v[24:25], 20, v[24:25]
	v_cmp_gt_i32_e32 vcc, 16, v28
	v_cndmask_b32_e32 v27, 0, v25, vcc
	v_cndmask_b32_e32 v26, 7, v24, vcc
	v_cmp_ne_u64_e32 vcc, 0, v[26:27]
	v_cmp_ne_u32_e64 s[2:3], 0, v28
	v_mov_b32_e32 v25, v2
	s_or_b64 s[2:3], s[2:3], vcc
	v_mov_b32_e32 v24, v1
	s_and_saveexec_b64 s[14:15], s[2:3]
	s_xor_b64 s[2:3], exec, s[14:15]
; %bb.429:                              ;   in Loop: Header=BB19_383 Depth=2
	v_min_i32_e32 v11, 15, v28
	v_lshl_or_b32 v1, v11, 3, v1
	v_and_or_b32 v24, v26, 7, v1
; %bb.430:                              ;   in Loop: Header=BB19_383 Depth=2
	s_andn2_saveexec_b64 s[2:3], s[2:3]
	s_or_b64 exec, exec, s[2:3]
.LBB19_431:                             ;   in Loop: Header=BB19_383 Depth=2
	s_or_b64 exec, exec, s[12:13]
                                        ; implicit-def: $vgpr1
.LBB19_432:                             ;   in Loop: Header=BB19_383 Depth=2
	s_andn2_saveexec_b64 s[2:3], s[10:11]
; %bb.433:                              ;   in Loop: Header=BB19_383 Depth=2
	v_or_b32_e32 v24, 0x7e, v1
; %bb.434:                              ;   in Loop: Header=BB19_383 Depth=2
	s_or_b64 exec, exec, s[2:3]
                                        ; implicit-def: $vgpr26
.LBB19_435:                             ;   in Loop: Header=BB19_383 Depth=2
	s_andn2_saveexec_b64 s[2:3], s[8:9]
; %bb.436:                              ;   in Loop: Header=BB19_383 Depth=2
	v_or_b32_sdwa v24, v26, s91 dst_sel:DWORD dst_unused:UNUSED_PAD src0_sel:BYTE_3 src1_sel:DWORD
; %bb.437:                              ;   in Loop: Header=BB19_383 Depth=2
	s_or_b64 exec, exec, s[2:3]
	v_and_b32_e32 v1, 0xffff0000, v2
	v_div_scale_f32 v2, s[2:3], s33, s33, v1
	v_div_scale_f32 v11, vcc, v1, s33, v1
	v_rcp_f32_e32 v25, v2
	v_fma_f32 v26, -v2, v25, 1.0
	v_fmac_f32_e32 v25, v26, v25
	v_mul_f32_e32 v26, v11, v25
	v_fma_f32 v27, -v2, v26, v11
	v_fmac_f32_e32 v26, v27, v25
	v_fma_f32 v2, -v2, v26, v11
	v_div_fmas_f32 v2, v2, v25, v26
	v_div_fixup_f32 v26, v2, s33, v1
	v_and_b32_e32 v11, 0x7f800000, v26
	v_cmp_ne_u64_e32 vcc, s[46:47], v[11:12]
                                        ; implicit-def: $vgpr1_vgpr2
	s_and_saveexec_b64 s[2:3], vcc
	s_xor_b64 s[8:9], exec, s[2:3]
	s_cbranch_execz .LBB19_453
; %bb.438:                              ;   in Loop: Header=BB19_383 Depth=2
	v_and_b32_e32 v11, 0x7fffffff, v26
	v_cmp_gt_u64_e32 vcc, s[48:49], v[11:12]
	v_and_b32_sdwa v25, v26, s87 dst_sel:DWORD dst_unused:UNUSED_PAD src0_sel:BYTE_3 src1_sel:DWORD
                                        ; implicit-def: $vgpr1_vgpr2
	s_and_saveexec_b64 s[2:3], vcc
	s_xor_b64 s[10:11], exec, s[2:3]
	s_cbranch_execz .LBB19_450
; %bb.439:                              ;   in Loop: Header=BB19_383 Depth=2
	v_mov_b32_e32 v1, 0
	v_cmp_ne_u32_e32 vcc, 0, v26
	v_mov_b32_e32 v2, 0
	s_and_saveexec_b64 s[12:13], vcc
	s_cbranch_execz .LBB19_449
; %bb.440:                              ;   in Loop: Header=BB19_383 Depth=2
	v_bfe_u32 v28, v26, 23, 8
	v_sub_u32_e32 v1, 0x79, v28
	v_cmp_gt_u32_e32 vcc, s88, v28
	v_cndmask_b32_e32 v1, 0, v1, vcc
	v_cmp_eq_u32_e32 vcc, 0, v28
	v_cndmask_b32_e32 v29, v1, v49, vcc
	v_and_b32_e32 v11, 0x7fffff, v26
	v_add_u32_e32 v1, 20, v29
	v_or_b32_e32 v26, 0x800000, v11
	v_lshlrev_b64 v[1:2], v1, -1
	v_cndmask_b32_e32 v11, v26, v11, vcc
	v_bfi_b32 v26, v1, 0, v11
	v_add_u32_e32 v1, 19, v29
	v_bfi_b32 v27, v2, 0, 0
	v_lshlrev_b64 v[38:39], v1, 1
	v_lshrrev_b64 v[1:2], v29, v[11:12]
	v_cmp_eq_u64_e64 s[2:3], v[26:27], v[38:39]
	v_mov_b32_e32 v27, v2
	v_mov_b32_e32 v26, v1
	s_and_saveexec_b64 s[14:15], s[2:3]
; %bb.441:                              ;   in Loop: Header=BB19_383 Depth=2
	v_bfe_u32 v2, v1, 20, 1
	v_add_co_u32_e64 v2, s[2:3], v1, v2
	v_add_co_u32_e64 v26, s[2:3], -1, v2
; %bb.442:                              ;   in Loop: Header=BB19_383 Depth=2
	s_or_b64 exec, exec, s[14:15]
	v_add_u32_e32 v2, 0xffffff81, v28
	v_cndmask_b32_e32 v2, v2, v50, vcc
	v_lshrrev_b32_e32 v11, 23, v1
	v_add3_u32 v29, v29, v2, v11
	v_add_u32_e32 v27, 6, v29
	v_and_b32_e32 v2, 0xfffff, v26
	v_add_u32_e32 v11, v2, v1
	v_cmp_ne_u32_e32 vcc, 0, v27
                                        ; implicit-def: $vgpr1_vgpr2
                                        ; implicit-def: $vgpr28
	s_and_saveexec_b64 s[2:3], vcc
	s_xor_b64 s[2:3], exec, s[2:3]
; %bb.443:                              ;   in Loop: Header=BB19_383 Depth=2
	v_cmp_lt_u64_e32 vcc, s[50:51], v[11:12]
	v_add_u32_e32 v1, 7, v29
	v_cndmask_b32_e32 v28, v27, v1, vcc
	v_cndmask_b32_e64 v1, 0, 1, vcc
	v_lshrrev_b64 v[1:2], v1, v[11:12]
; %bb.444:                              ;   in Loop: Header=BB19_383 Depth=2
	s_andn2_saveexec_b64 s[2:3], s[2:3]
; %bb.445:                              ;   in Loop: Header=BB19_383 Depth=2
	v_mov_b32_e32 v1, v11
	v_bfe_u32 v28, v11, 23, 1
	v_mov_b32_e32 v2, v12
; %bb.446:                              ;   in Loop: Header=BB19_383 Depth=2
	s_or_b64 exec, exec, s[2:3]
	v_lshrrev_b64 v[1:2], 20, v[1:2]
	v_cmp_gt_i32_e32 vcc, 16, v28
	v_cndmask_b32_e32 v27, 0, v2, vcc
	v_cndmask_b32_e32 v26, 7, v1, vcc
	v_cmp_ne_u64_e32 vcc, 0, v[26:27]
	v_cmp_ne_u32_e64 s[2:3], 0, v28
	s_or_b64 s[2:3], s[2:3], vcc
	v_mov_b32_e32 v1, v25
	v_mov_b32_e32 v2, v26
	s_and_saveexec_b64 s[14:15], s[2:3]
	s_xor_b64 s[2:3], exec, s[14:15]
; %bb.447:                              ;   in Loop: Header=BB19_383 Depth=2
	v_min_i32_e32 v1, 15, v28
	v_lshl_or_b32 v1, v1, 3, v25
	v_and_or_b32 v1, v26, 7, v1
; %bb.448:                              ;   in Loop: Header=BB19_383 Depth=2
	s_andn2_saveexec_b64 s[2:3], s[2:3]
	s_or_b64 exec, exec, s[2:3]
.LBB19_449:                             ;   in Loop: Header=BB19_383 Depth=2
	s_or_b64 exec, exec, s[12:13]
                                        ; implicit-def: $vgpr25
.LBB19_450:                             ;   in Loop: Header=BB19_383 Depth=2
	s_andn2_saveexec_b64 s[2:3], s[10:11]
; %bb.451:                              ;   in Loop: Header=BB19_383 Depth=2
	v_or_b32_e32 v1, 0x7e, v25
; %bb.452:                              ;   in Loop: Header=BB19_383 Depth=2
	s_or_b64 exec, exec, s[2:3]
                                        ; implicit-def: $vgpr26
.LBB19_453:                             ;   in Loop: Header=BB19_383 Depth=2
	s_andn2_saveexec_b64 s[2:3], s[8:9]
; %bb.454:                              ;   in Loop: Header=BB19_383 Depth=2
	v_or_b32_sdwa v1, v26, s91 dst_sel:DWORD dst_unused:UNUSED_PAD src0_sel:BYTE_3 src1_sel:DWORD
; %bb.455:                              ;   in Loop: Header=BB19_383 Depth=2
	s_or_b64 exec, exec, s[2:3]
	v_lshlrev_b32_e32 v2, 16, v3
	v_div_scale_f32 v11, s[2:3], s33, s33, v2
	v_div_scale_f32 v25, vcc, v2, s33, v2
	v_rcp_f32_e32 v26, v11
	v_fma_f32 v27, -v11, v26, 1.0
	v_fmac_f32_e32 v26, v27, v26
	v_mul_f32_e32 v27, v25, v26
	v_fma_f32 v28, -v11, v27, v25
	v_fmac_f32_e32 v27, v28, v26
	v_fma_f32 v11, -v11, v27, v25
	v_div_fmas_f32 v11, v11, v26, v27
                                        ; implicit-def: $vgpr25_vgpr26
	v_div_fixup_f32 v27, v11, s33, v2
	v_and_b32_e32 v11, 0x7f800000, v27
	v_cmp_ne_u64_e32 vcc, s[46:47], v[11:12]
	s_and_saveexec_b64 s[2:3], vcc
	s_xor_b64 s[8:9], exec, s[2:3]
	s_cbranch_execz .LBB19_471
; %bb.456:                              ;   in Loop: Header=BB19_383 Depth=2
	v_and_b32_e32 v11, 0x7fffffff, v27
	v_cmp_gt_u64_e32 vcc, s[48:49], v[11:12]
	v_and_b32_sdwa v2, v27, s87 dst_sel:DWORD dst_unused:UNUSED_PAD src0_sel:BYTE_3 src1_sel:DWORD
                                        ; implicit-def: $vgpr25_vgpr26
	s_and_saveexec_b64 s[2:3], vcc
	s_xor_b64 s[10:11], exec, s[2:3]
	s_cbranch_execz .LBB19_468
; %bb.457:                              ;   in Loop: Header=BB19_383 Depth=2
	v_mov_b32_e32 v25, 0
	v_cmp_ne_u32_e32 vcc, 0, v27
	v_mov_b32_e32 v26, 0
	s_and_saveexec_b64 s[12:13], vcc
	s_cbranch_execz .LBB19_467
; %bb.458:                              ;   in Loop: Header=BB19_383 Depth=2
	v_bfe_u32 v28, v27, 23, 8
	v_sub_u32_e32 v25, 0x79, v28
	v_cmp_gt_u32_e32 vcc, s88, v28
	v_cndmask_b32_e32 v25, 0, v25, vcc
	v_cmp_eq_u32_e32 vcc, 0, v28
	v_cndmask_b32_e32 v29, v25, v49, vcc
	v_and_b32_e32 v11, 0x7fffff, v27
	v_add_u32_e32 v25, 20, v29
	v_or_b32_e32 v27, 0x800000, v11
	v_lshlrev_b64 v[25:26], v25, -1
	v_cndmask_b32_e32 v11, v27, v11, vcc
	v_bfi_b32 v38, v25, 0, v11
	v_add_u32_e32 v25, 19, v29
	v_bfi_b32 v39, v26, 0, 0
	v_lshlrev_b64 v[40:41], v25, 1
	v_lshrrev_b64 v[25:26], v29, v[11:12]
	v_cmp_eq_u64_e64 s[2:3], v[38:39], v[40:41]
	v_mov_b32_e32 v27, v26
	v_mov_b32_e32 v26, v25
	s_and_saveexec_b64 s[14:15], s[2:3]
; %bb.459:                              ;   in Loop: Header=BB19_383 Depth=2
	v_bfe_u32 v11, v25, 20, 1
	v_add_co_u32_e64 v11, s[2:3], v25, v11
	v_add_co_u32_e64 v26, s[2:3], -1, v11
; %bb.460:                              ;   in Loop: Header=BB19_383 Depth=2
	s_or_b64 exec, exec, s[14:15]
	v_add_u32_e32 v11, 0xffffff81, v28
	v_cndmask_b32_e32 v11, v11, v50, vcc
	v_lshrrev_b32_e32 v27, 23, v25
	v_add3_u32 v28, v29, v11, v27
	v_add_u32_e32 v27, 6, v28
	v_and_b32_e32 v11, 0xfffff, v26
	v_add_u32_e32 v11, v11, v25
	v_cmp_ne_u32_e32 vcc, 0, v27
                                        ; implicit-def: $vgpr25_vgpr26
                                        ; implicit-def: $vgpr29
	s_and_saveexec_b64 s[2:3], vcc
	s_xor_b64 s[2:3], exec, s[2:3]
; %bb.461:                              ;   in Loop: Header=BB19_383 Depth=2
	v_cmp_lt_u64_e32 vcc, s[50:51], v[11:12]
	v_add_u32_e32 v25, 7, v28
	v_cndmask_b32_e32 v29, v27, v25, vcc
	v_cndmask_b32_e64 v25, 0, 1, vcc
	v_lshrrev_b64 v[25:26], v25, v[11:12]
; %bb.462:                              ;   in Loop: Header=BB19_383 Depth=2
	s_andn2_saveexec_b64 s[2:3], s[2:3]
; %bb.463:                              ;   in Loop: Header=BB19_383 Depth=2
	v_mov_b32_e32 v26, v12
	v_bfe_u32 v29, v11, 23, 1
	v_mov_b32_e32 v25, v11
; %bb.464:                              ;   in Loop: Header=BB19_383 Depth=2
	s_or_b64 exec, exec, s[2:3]
	v_lshrrev_b64 v[25:26], 20, v[25:26]
	v_cmp_gt_i32_e32 vcc, 16, v29
	v_cndmask_b32_e32 v28, 0, v26, vcc
	v_cndmask_b32_e32 v27, 7, v25, vcc
	v_cmp_ne_u64_e32 vcc, 0, v[27:28]
	v_cmp_ne_u32_e64 s[2:3], 0, v29
	v_mov_b32_e32 v26, v3
	s_or_b64 s[2:3], s[2:3], vcc
	v_mov_b32_e32 v25, v2
	s_and_saveexec_b64 s[14:15], s[2:3]
	s_xor_b64 s[2:3], exec, s[14:15]
; %bb.465:                              ;   in Loop: Header=BB19_383 Depth=2
	v_min_i32_e32 v11, 15, v29
	v_lshl_or_b32 v2, v11, 3, v2
	v_and_or_b32 v25, v27, 7, v2
; %bb.466:                              ;   in Loop: Header=BB19_383 Depth=2
	s_andn2_saveexec_b64 s[2:3], s[2:3]
	s_or_b64 exec, exec, s[2:3]
.LBB19_467:                             ;   in Loop: Header=BB19_383 Depth=2
	s_or_b64 exec, exec, s[12:13]
                                        ; implicit-def: $vgpr2
.LBB19_468:                             ;   in Loop: Header=BB19_383 Depth=2
	s_andn2_saveexec_b64 s[2:3], s[10:11]
; %bb.469:                              ;   in Loop: Header=BB19_383 Depth=2
	v_or_b32_e32 v25, 0x7e, v2
; %bb.470:                              ;   in Loop: Header=BB19_383 Depth=2
	s_or_b64 exec, exec, s[2:3]
                                        ; implicit-def: $vgpr27
.LBB19_471:                             ;   in Loop: Header=BB19_383 Depth=2
	s_andn2_saveexec_b64 s[2:3], s[8:9]
; %bb.472:                              ;   in Loop: Header=BB19_383 Depth=2
	v_or_b32_sdwa v25, v27, s91 dst_sel:DWORD dst_unused:UNUSED_PAD src0_sel:BYTE_3 src1_sel:DWORD
; %bb.473:                              ;   in Loop: Header=BB19_383 Depth=2
	s_or_b64 exec, exec, s[2:3]
	v_and_b32_e32 v2, 0xffff0000, v3
	v_div_scale_f32 v3, s[2:3], s33, s33, v2
	v_div_scale_f32 v11, vcc, v2, s33, v2
	v_rcp_f32_e32 v26, v3
	v_fma_f32 v27, -v3, v26, 1.0
	v_fmac_f32_e32 v26, v27, v26
	v_mul_f32_e32 v27, v11, v26
	v_fma_f32 v28, -v3, v27, v11
	v_fmac_f32_e32 v27, v28, v26
	v_fma_f32 v3, -v3, v27, v11
	v_div_fmas_f32 v3, v3, v26, v27
	v_div_fixup_f32 v27, v3, s33, v2
	v_and_b32_e32 v11, 0x7f800000, v27
	v_cmp_ne_u64_e32 vcc, s[46:47], v[11:12]
                                        ; implicit-def: $vgpr2_vgpr3
	s_and_saveexec_b64 s[2:3], vcc
	s_xor_b64 s[8:9], exec, s[2:3]
	s_cbranch_execz .LBB19_489
; %bb.474:                              ;   in Loop: Header=BB19_383 Depth=2
	v_and_b32_e32 v11, 0x7fffffff, v27
	v_cmp_gt_u64_e32 vcc, s[48:49], v[11:12]
	v_and_b32_sdwa v26, v27, s87 dst_sel:DWORD dst_unused:UNUSED_PAD src0_sel:BYTE_3 src1_sel:DWORD
                                        ; implicit-def: $vgpr2_vgpr3
	s_and_saveexec_b64 s[2:3], vcc
	s_xor_b64 s[10:11], exec, s[2:3]
	s_cbranch_execz .LBB19_486
; %bb.475:                              ;   in Loop: Header=BB19_383 Depth=2
	v_mov_b32_e32 v2, 0
	v_cmp_ne_u32_e32 vcc, 0, v27
	v_mov_b32_e32 v3, 0
	s_and_saveexec_b64 s[12:13], vcc
	s_cbranch_execz .LBB19_485
; %bb.476:                              ;   in Loop: Header=BB19_383 Depth=2
	v_bfe_u32 v29, v27, 23, 8
	v_sub_u32_e32 v2, 0x79, v29
	v_cmp_gt_u32_e32 vcc, s88, v29
	v_cndmask_b32_e32 v2, 0, v2, vcc
	v_cmp_eq_u32_e32 vcc, 0, v29
	v_cndmask_b32_e32 v30, v2, v49, vcc
	v_and_b32_e32 v11, 0x7fffff, v27
	v_add_u32_e32 v2, 20, v30
	v_or_b32_e32 v27, 0x800000, v11
	v_lshlrev_b64 v[2:3], v2, -1
	v_cndmask_b32_e32 v11, v27, v11, vcc
	v_bfi_b32 v27, v2, 0, v11
	v_add_u32_e32 v2, 19, v30
	v_bfi_b32 v28, v3, 0, 0
	v_lshlrev_b64 v[38:39], v2, 1
	v_lshrrev_b64 v[2:3], v30, v[11:12]
	v_cmp_eq_u64_e64 s[2:3], v[27:28], v[38:39]
	v_mov_b32_e32 v28, v3
	v_mov_b32_e32 v27, v2
	s_and_saveexec_b64 s[14:15], s[2:3]
; %bb.477:                              ;   in Loop: Header=BB19_383 Depth=2
	v_bfe_u32 v3, v2, 20, 1
	v_add_co_u32_e64 v3, s[2:3], v2, v3
	v_add_co_u32_e64 v27, s[2:3], -1, v3
; %bb.478:                              ;   in Loop: Header=BB19_383 Depth=2
	s_or_b64 exec, exec, s[14:15]
	v_add_u32_e32 v3, 0xffffff81, v29
	v_cndmask_b32_e32 v3, v3, v50, vcc
	v_lshrrev_b32_e32 v11, 23, v2
	v_add3_u32 v30, v30, v3, v11
	v_add_u32_e32 v28, 6, v30
	v_and_b32_e32 v3, 0xfffff, v27
	v_add_u32_e32 v11, v3, v2
	v_cmp_ne_u32_e32 vcc, 0, v28
                                        ; implicit-def: $vgpr2_vgpr3
                                        ; implicit-def: $vgpr29
	s_and_saveexec_b64 s[2:3], vcc
	s_xor_b64 s[2:3], exec, s[2:3]
; %bb.479:                              ;   in Loop: Header=BB19_383 Depth=2
	v_cmp_lt_u64_e32 vcc, s[50:51], v[11:12]
	v_add_u32_e32 v2, 7, v30
	v_cndmask_b32_e32 v29, v28, v2, vcc
	v_cndmask_b32_e64 v2, 0, 1, vcc
	v_lshrrev_b64 v[2:3], v2, v[11:12]
; %bb.480:                              ;   in Loop: Header=BB19_383 Depth=2
	s_andn2_saveexec_b64 s[2:3], s[2:3]
; %bb.481:                              ;   in Loop: Header=BB19_383 Depth=2
	v_mov_b32_e32 v2, v11
	v_bfe_u32 v29, v11, 23, 1
	v_mov_b32_e32 v3, v12
; %bb.482:                              ;   in Loop: Header=BB19_383 Depth=2
	s_or_b64 exec, exec, s[2:3]
	v_lshrrev_b64 v[2:3], 20, v[2:3]
	v_cmp_gt_i32_e32 vcc, 16, v29
	v_cndmask_b32_e32 v28, 0, v3, vcc
	v_cndmask_b32_e32 v27, 7, v2, vcc
	v_cmp_ne_u64_e32 vcc, 0, v[27:28]
	v_cmp_ne_u32_e64 s[2:3], 0, v29
	s_or_b64 s[2:3], s[2:3], vcc
	v_mov_b32_e32 v2, v26
	v_mov_b32_e32 v3, v27
	s_and_saveexec_b64 s[14:15], s[2:3]
	s_xor_b64 s[2:3], exec, s[14:15]
; %bb.483:                              ;   in Loop: Header=BB19_383 Depth=2
	v_min_i32_e32 v2, 15, v29
	v_lshl_or_b32 v2, v2, 3, v26
	v_and_or_b32 v2, v27, 7, v2
; %bb.484:                              ;   in Loop: Header=BB19_383 Depth=2
	s_andn2_saveexec_b64 s[2:3], s[2:3]
	s_or_b64 exec, exec, s[2:3]
.LBB19_485:                             ;   in Loop: Header=BB19_383 Depth=2
	s_or_b64 exec, exec, s[12:13]
                                        ; implicit-def: $vgpr26
.LBB19_486:                             ;   in Loop: Header=BB19_383 Depth=2
	s_andn2_saveexec_b64 s[2:3], s[10:11]
; %bb.487:                              ;   in Loop: Header=BB19_383 Depth=2
	v_or_b32_e32 v2, 0x7e, v26
; %bb.488:                              ;   in Loop: Header=BB19_383 Depth=2
	s_or_b64 exec, exec, s[2:3]
                                        ; implicit-def: $vgpr27
.LBB19_489:                             ;   in Loop: Header=BB19_383 Depth=2
	s_andn2_saveexec_b64 s[2:3], s[8:9]
; %bb.490:                              ;   in Loop: Header=BB19_383 Depth=2
	v_or_b32_sdwa v2, v27, s91 dst_sel:DWORD dst_unused:UNUSED_PAD src0_sel:BYTE_3 src1_sel:DWORD
; %bb.491:                              ;   in Loop: Header=BB19_383 Depth=2
	s_or_b64 exec, exec, s[2:3]
	v_lshlrev_b32_e32 v3, 16, v4
	v_div_scale_f32 v11, s[2:3], s33, s33, v3
	v_div_scale_f32 v26, vcc, v3, s33, v3
	v_rcp_f32_e32 v27, v11
	v_fma_f32 v28, -v11, v27, 1.0
	v_fmac_f32_e32 v27, v28, v27
	v_mul_f32_e32 v28, v26, v27
	v_fma_f32 v29, -v11, v28, v26
	v_fmac_f32_e32 v28, v29, v27
	v_fma_f32 v11, -v11, v28, v26
	v_div_fmas_f32 v11, v11, v27, v28
                                        ; implicit-def: $vgpr26_vgpr27
	v_div_fixup_f32 v28, v11, s33, v3
	v_and_b32_e32 v11, 0x7f800000, v28
	v_cmp_ne_u64_e32 vcc, s[46:47], v[11:12]
	s_and_saveexec_b64 s[2:3], vcc
	s_xor_b64 s[8:9], exec, s[2:3]
	s_cbranch_execz .LBB19_507
; %bb.492:                              ;   in Loop: Header=BB19_383 Depth=2
	v_and_b32_e32 v11, 0x7fffffff, v28
	v_cmp_gt_u64_e32 vcc, s[48:49], v[11:12]
	v_and_b32_sdwa v3, v28, s87 dst_sel:DWORD dst_unused:UNUSED_PAD src0_sel:BYTE_3 src1_sel:DWORD
                                        ; implicit-def: $vgpr26_vgpr27
	s_and_saveexec_b64 s[2:3], vcc
	s_xor_b64 s[10:11], exec, s[2:3]
	s_cbranch_execz .LBB19_504
; %bb.493:                              ;   in Loop: Header=BB19_383 Depth=2
	v_mov_b32_e32 v26, 0
	v_cmp_ne_u32_e32 vcc, 0, v28
	v_mov_b32_e32 v27, 0
	s_and_saveexec_b64 s[12:13], vcc
	s_cbranch_execz .LBB19_503
; %bb.494:                              ;   in Loop: Header=BB19_383 Depth=2
	v_bfe_u32 v29, v28, 23, 8
	v_sub_u32_e32 v26, 0x79, v29
	v_cmp_gt_u32_e32 vcc, s88, v29
	v_cndmask_b32_e32 v26, 0, v26, vcc
	v_cmp_eq_u32_e32 vcc, 0, v29
	v_cndmask_b32_e32 v30, v26, v49, vcc
	v_and_b32_e32 v11, 0x7fffff, v28
	v_add_u32_e32 v26, 20, v30
	v_or_b32_e32 v28, 0x800000, v11
	v_lshlrev_b64 v[26:27], v26, -1
	v_cndmask_b32_e32 v11, v28, v11, vcc
	v_bfi_b32 v38, v26, 0, v11
	v_add_u32_e32 v26, 19, v30
	v_bfi_b32 v39, v27, 0, 0
	v_lshlrev_b64 v[40:41], v26, 1
	v_lshrrev_b64 v[26:27], v30, v[11:12]
	v_cmp_eq_u64_e64 s[2:3], v[38:39], v[40:41]
	v_mov_b32_e32 v28, v27
	v_mov_b32_e32 v27, v26
	s_and_saveexec_b64 s[14:15], s[2:3]
; %bb.495:                              ;   in Loop: Header=BB19_383 Depth=2
	v_bfe_u32 v11, v26, 20, 1
	v_add_co_u32_e64 v11, s[2:3], v26, v11
	v_add_co_u32_e64 v27, s[2:3], -1, v11
; %bb.496:                              ;   in Loop: Header=BB19_383 Depth=2
	s_or_b64 exec, exec, s[14:15]
	v_add_u32_e32 v11, 0xffffff81, v29
	v_cndmask_b32_e32 v11, v11, v50, vcc
	v_lshrrev_b32_e32 v28, 23, v26
	v_add3_u32 v29, v30, v11, v28
	v_add_u32_e32 v28, 6, v29
	v_and_b32_e32 v11, 0xfffff, v27
	v_add_u32_e32 v11, v11, v26
	v_cmp_ne_u32_e32 vcc, 0, v28
                                        ; implicit-def: $vgpr26_vgpr27
                                        ; implicit-def: $vgpr30
	s_and_saveexec_b64 s[2:3], vcc
	s_xor_b64 s[2:3], exec, s[2:3]
; %bb.497:                              ;   in Loop: Header=BB19_383 Depth=2
	v_cmp_lt_u64_e32 vcc, s[50:51], v[11:12]
	v_add_u32_e32 v26, 7, v29
	v_cndmask_b32_e32 v30, v28, v26, vcc
	v_cndmask_b32_e64 v26, 0, 1, vcc
	v_lshrrev_b64 v[26:27], v26, v[11:12]
; %bb.498:                              ;   in Loop: Header=BB19_383 Depth=2
	s_andn2_saveexec_b64 s[2:3], s[2:3]
; %bb.499:                              ;   in Loop: Header=BB19_383 Depth=2
	v_mov_b32_e32 v27, v12
	v_bfe_u32 v30, v11, 23, 1
	v_mov_b32_e32 v26, v11
; %bb.500:                              ;   in Loop: Header=BB19_383 Depth=2
	s_or_b64 exec, exec, s[2:3]
	v_lshrrev_b64 v[26:27], 20, v[26:27]
	v_cmp_gt_i32_e32 vcc, 16, v30
	v_cndmask_b32_e32 v29, 0, v27, vcc
	v_cndmask_b32_e32 v28, 7, v26, vcc
	v_cmp_ne_u64_e32 vcc, 0, v[28:29]
	v_cmp_ne_u32_e64 s[2:3], 0, v30
	v_mov_b32_e32 v27, v4
	s_or_b64 s[2:3], s[2:3], vcc
	v_mov_b32_e32 v26, v3
	s_and_saveexec_b64 s[14:15], s[2:3]
	s_xor_b64 s[2:3], exec, s[14:15]
; %bb.501:                              ;   in Loop: Header=BB19_383 Depth=2
	v_min_i32_e32 v11, 15, v30
	v_lshl_or_b32 v3, v11, 3, v3
	v_and_or_b32 v26, v28, 7, v3
; %bb.502:                              ;   in Loop: Header=BB19_383 Depth=2
	s_andn2_saveexec_b64 s[2:3], s[2:3]
	s_or_b64 exec, exec, s[2:3]
.LBB19_503:                             ;   in Loop: Header=BB19_383 Depth=2
	s_or_b64 exec, exec, s[12:13]
                                        ; implicit-def: $vgpr3
.LBB19_504:                             ;   in Loop: Header=BB19_383 Depth=2
	s_andn2_saveexec_b64 s[2:3], s[10:11]
; %bb.505:                              ;   in Loop: Header=BB19_383 Depth=2
	v_or_b32_e32 v26, 0x7e, v3
; %bb.506:                              ;   in Loop: Header=BB19_383 Depth=2
	s_or_b64 exec, exec, s[2:3]
                                        ; implicit-def: $vgpr28
.LBB19_507:                             ;   in Loop: Header=BB19_383 Depth=2
	s_andn2_saveexec_b64 s[2:3], s[8:9]
; %bb.508:                              ;   in Loop: Header=BB19_383 Depth=2
	v_or_b32_sdwa v26, v28, s91 dst_sel:DWORD dst_unused:UNUSED_PAD src0_sel:BYTE_3 src1_sel:DWORD
; %bb.509:                              ;   in Loop: Header=BB19_383 Depth=2
	s_or_b64 exec, exec, s[2:3]
	v_and_b32_e32 v3, 0xffff0000, v4
	v_div_scale_f32 v4, s[2:3], s33, s33, v3
	v_div_scale_f32 v11, vcc, v3, s33, v3
	v_rcp_f32_e32 v27, v4
	v_fma_f32 v28, -v4, v27, 1.0
	v_fmac_f32_e32 v27, v28, v27
	v_mul_f32_e32 v28, v11, v27
	v_fma_f32 v29, -v4, v28, v11
	v_fmac_f32_e32 v28, v29, v27
	v_fma_f32 v4, -v4, v28, v11
	v_div_fmas_f32 v4, v4, v27, v28
                                        ; implicit-def: $vgpr27_vgpr28
	v_div_fixup_f32 v4, v4, s33, v3
	v_and_b32_e32 v11, 0x7f800000, v4
	v_cmp_ne_u64_e32 vcc, s[46:47], v[11:12]
	s_and_saveexec_b64 s[2:3], vcc
	s_xor_b64 s[8:9], exec, s[2:3]
	s_cbranch_execz .LBB19_525
; %bb.510:                              ;   in Loop: Header=BB19_383 Depth=2
	v_and_b32_e32 v11, 0x7fffffff, v4
	v_cmp_gt_u64_e32 vcc, s[48:49], v[11:12]
	v_and_b32_sdwa v3, v4, s87 dst_sel:DWORD dst_unused:UNUSED_PAD src0_sel:BYTE_3 src1_sel:DWORD
                                        ; implicit-def: $vgpr27_vgpr28
	s_and_saveexec_b64 s[2:3], vcc
	s_xor_b64 s[10:11], exec, s[2:3]
	s_cbranch_execz .LBB19_522
; %bb.511:                              ;   in Loop: Header=BB19_383 Depth=2
	v_mov_b32_e32 v27, 0
	v_cmp_ne_u32_e32 vcc, 0, v4
	v_mov_b32_e32 v28, 0
	s_and_saveexec_b64 s[12:13], vcc
	s_cbranch_execz .LBB19_521
; %bb.512:                              ;   in Loop: Header=BB19_383 Depth=2
	v_and_b32_e32 v11, 0x7fffff, v4
	v_bfe_u32 v4, v4, 23, 8
	v_sub_u32_e32 v27, 0x79, v4
	v_cmp_gt_u32_e32 vcc, s88, v4
	v_cndmask_b32_e32 v27, 0, v27, vcc
	v_cmp_eq_u32_e32 vcc, 0, v4
	v_cndmask_b32_e32 v30, v27, v49, vcc
	v_add_u32_e32 v27, 20, v30
	v_or_b32_e32 v29, 0x800000, v11
	v_lshlrev_b64 v[27:28], v27, -1
	v_cndmask_b32_e32 v11, v29, v11, vcc
	v_bfi_b32 v38, v27, 0, v11
	v_add_u32_e32 v27, 19, v30
	v_bfi_b32 v39, v28, 0, 0
	v_lshlrev_b64 v[40:41], v27, 1
	v_lshrrev_b64 v[27:28], v30, v[11:12]
	v_cmp_eq_u64_e64 s[2:3], v[38:39], v[40:41]
	v_mov_b32_e32 v29, v28
	v_mov_b32_e32 v28, v27
	s_and_saveexec_b64 s[14:15], s[2:3]
; %bb.513:                              ;   in Loop: Header=BB19_383 Depth=2
	v_bfe_u32 v11, v27, 20, 1
	v_add_co_u32_e64 v11, s[2:3], v27, v11
	v_add_co_u32_e64 v28, s[2:3], -1, v11
; %bb.514:                              ;   in Loop: Header=BB19_383 Depth=2
	s_or_b64 exec, exec, s[14:15]
	v_add_u32_e32 v4, 0xffffff81, v4
	v_cndmask_b32_e32 v4, v4, v50, vcc
	v_lshrrev_b32_e32 v11, 23, v27
	v_add3_u32 v30, v30, v4, v11
	v_add_u32_e32 v29, 6, v30
	v_and_b32_e32 v4, 0xfffff, v28
	v_add_u32_e32 v11, v4, v27
	v_cmp_ne_u32_e32 vcc, 0, v29
                                        ; implicit-def: $vgpr27_vgpr28
                                        ; implicit-def: $vgpr4
	s_and_saveexec_b64 s[2:3], vcc
	s_xor_b64 s[2:3], exec, s[2:3]
; %bb.515:                              ;   in Loop: Header=BB19_383 Depth=2
	v_cmp_lt_u64_e32 vcc, s[50:51], v[11:12]
	v_add_u32_e32 v4, 7, v30
	v_cndmask_b32_e64 v27, 0, 1, vcc
	v_lshrrev_b64 v[27:28], v27, v[11:12]
	v_cndmask_b32_e32 v4, v29, v4, vcc
; %bb.516:                              ;   in Loop: Header=BB19_383 Depth=2
	s_andn2_saveexec_b64 s[2:3], s[2:3]
; %bb.517:                              ;   in Loop: Header=BB19_383 Depth=2
	v_mov_b32_e32 v28, v12
	v_bfe_u32 v4, v11, 23, 1
	v_mov_b32_e32 v27, v11
; %bb.518:                              ;   in Loop: Header=BB19_383 Depth=2
	s_or_b64 exec, exec, s[2:3]
	v_lshrrev_b64 v[27:28], 20, v[27:28]
	v_cmp_gt_i32_e32 vcc, 16, v4
	v_cndmask_b32_e32 v30, 0, v28, vcc
	v_cndmask_b32_e32 v29, 7, v27, vcc
	v_cmp_ne_u64_e32 vcc, 0, v[29:30]
	v_cmp_ne_u32_e64 s[2:3], 0, v4
	v_mov_b32_e32 v28, v4
	s_or_b64 s[2:3], s[2:3], vcc
	v_mov_b32_e32 v27, v3
	s_and_saveexec_b64 s[14:15], s[2:3]
	s_xor_b64 s[2:3], exec, s[14:15]
; %bb.519:                              ;   in Loop: Header=BB19_383 Depth=2
	v_min_i32_e32 v4, 15, v4
	v_lshl_or_b32 v3, v4, 3, v3
	v_and_or_b32 v27, v29, 7, v3
; %bb.520:                              ;   in Loop: Header=BB19_383 Depth=2
	s_andn2_saveexec_b64 s[2:3], s[2:3]
	s_or_b64 exec, exec, s[2:3]
.LBB19_521:                             ;   in Loop: Header=BB19_383 Depth=2
	s_or_b64 exec, exec, s[12:13]
                                        ; implicit-def: $vgpr3
.LBB19_522:                             ;   in Loop: Header=BB19_383 Depth=2
	s_andn2_saveexec_b64 s[2:3], s[10:11]
; %bb.523:                              ;   in Loop: Header=BB19_383 Depth=2
	v_or_b32_e32 v27, 0x7e, v3
; %bb.524:                              ;   in Loop: Header=BB19_383 Depth=2
	s_or_b64 exec, exec, s[2:3]
                                        ; implicit-def: $vgpr4
.LBB19_525:                             ;   in Loop: Header=BB19_383 Depth=2
	s_andn2_saveexec_b64 s[2:3], s[8:9]
	s_cbranch_execz .LBB19_382
; %bb.526:                              ;   in Loop: Header=BB19_383 Depth=2
	v_or_b32_sdwa v27, v4, s91 dst_sel:DWORD dst_unused:UNUSED_PAD src0_sel:BYTE_3 src1_sel:DWORD
	s_branch .LBB19_382
.LBB19_527:                             ;   in Loop: Header=BB19_9 Depth=1
	s_or_b64 exec, exec, s[4:5]
	v_lshlrev_b32_e32 v2, 3, v51
	v_add_u32_e32 v1, v2, v37
	v_cmp_lt_i32_e32 vcc, v1, v31
	s_and_saveexec_b64 s[56:57], vcc
	s_cbranch_execz .LBB19_555
; %bb.528:                              ;   in Loop: Header=BB19_9 Depth=1
	v_add_u32_e32 v3, v59, v2
	v_max_i32_e32 v3, v3, v31
	v_add_u32_e32 v3, v3, v62
	v_sub_u32_e32 v2, v3, v2
	v_cmp_lt_u32_e32 vcc, 31, v2
	s_mov_b64 s[2:3], -1
	s_and_saveexec_b64 s[58:59], vcc
	s_cbranch_execz .LBB19_532
; %bb.529:                              ;   in Loop: Header=BB19_9 Depth=1
	v_lshrrev_b32_e32 v2, 5, v2
	v_add_co_u32_e32 v10, vcc, v32, v17
	v_add_u32_e32 v4, 1, v2
	v_addc_co_u32_e32 v26, vcc, v33, v18, vcc
	v_add_u32_e32 v2, 32, v1
	v_add_co_u32_e32 v27, vcc, v34, v15
	v_and_b32_e32 v25, 0xffffffe, v4
	v_mov_b32_e32 v3, v2
	v_addc_co_u32_e32 v28, vcc, v35, v16, vcc
	s_mov_b64 s[60:61], 0
	v_mov_b32_e32 v29, v25
	v_mov_b32_e32 v2, v1
.LBB19_530:                             ;   Parent Loop BB19_9 Depth=1
                                        ; =>  This Inner Loop Header: Depth=2
	v_ashrrev_i32_e32 v33, 31, v2
	v_add_co_u32_e32 v19, vcc, v27, v2
	v_mov_b32_e32 v32, v2
	v_addc_co_u32_e32 v20, vcc, v28, v33, vcc
	v_ashrrev_i32_e32 v24, 31, v3
	v_add_co_u32_e32 v21, vcc, v27, v3
	v_lshlrev_b64 v[32:33], 1, v[32:33]
	v_mov_b32_e32 v23, v3
	v_addc_co_u32_e32 v22, vcc, v28, v24, vcc
	v_add_co_u32_e32 v32, vcc, v10, v32
	v_lshlrev_b64 v[23:24], 1, v[23:24]
	v_addc_co_u32_e32 v33, vcc, v26, v33, vcc
	v_add_co_u32_e32 v23, vcc, v10, v23
	v_addc_co_u32_e32 v24, vcc, v26, v24, vcc
	global_load_ushort v11, v[32:33], off
	s_nop 0
	global_load_ushort v23, v[23:24], off
	v_add_u32_e32 v29, -2, v29
	v_add_u32_e32 v3, 64, v3
	v_add_u32_e32 v2, 64, v2
	s_waitcnt vmcnt(1)
	v_lshlrev_b32_e32 v11, 16, v11
	s_waitcnt vmcnt(0)
	v_lshlrev_b32_e32 v23, 16, v23
	v_div_scale_f32 v24, s[2:3], s79, s79, v23
	v_rcp_f32_e32 v30, v24
	v_fma_f32 v32, -v24, v30, 1.0
	v_fmac_f32_e32 v30, v32, v30
	v_div_scale_f32 v32, vcc, v23, s79, v23
	v_mul_f32_e32 v33, v32, v30
	v_fma_f32 v34, -v24, v33, v32
	v_fmac_f32_e32 v33, v34, v30
	v_fma_f32 v24, -v24, v33, v32
	v_div_fmas_f32 v24, v24, v30, v33
	v_div_fixup_f32 v30, v24, s79, v23
	v_div_scale_f32 v23, s[2:3], s33, s33, v11
	v_and_b32_e32 v38, 0x7f800000, v30
	v_cmp_ne_u32_e64 s[14:15], 0, v30
	v_cmp_eq_u32_e64 s[8:9], 0, v30
	v_rcp_f32_e32 v24, v23
	v_fma_f32 v32, -v23, v24, 1.0
	v_fmac_f32_e32 v24, v32, v24
	v_div_scale_f32 v32, vcc, v11, s33, v11
	v_mul_f32_e32 v33, v32, v24
	v_fma_f32 v34, -v23, v33, v32
	v_fmac_f32_e32 v33, v34, v24
	v_fma_f32 v23, -v23, v33, v32
	v_div_fmas_f32 v23, v23, v24, v33
	v_cmp_ne_u32_e32 vcc, s86, v38
	v_and_b32_sdwa v33, v30, s87 dst_sel:DWORD dst_unused:UNUSED_PAD src0_sel:BYTE_3 src1_sel:DWORD
	v_div_fixup_f32 v32, v23, s33, v11
	v_and_b32_e32 v39, 0x7f800000, v32
	v_lshrrev_b32_e32 v35, 23, v32
	v_cmp_ne_u32_e64 s[2:3], s86, v39
	v_and_b32_e32 v39, 0x7fffffff, v30
	v_lshrrev_b32_e32 v23, 23, v30
	v_and_b32_e32 v38, 0x7fffffff, v32
	v_cmp_gt_u32_e64 s[4:5], s94, v39
	v_cmp_eq_u32_sdwa s[18:19], v35, v12 src0_sel:BYTE_0 src1_sel:DWORD
	v_add_u32_sdwa v39, v35, s90 dst_sel:DWORD dst_unused:UNUSED_PAD src0_sel:BYTE_0 src1_sel:DWORD
	v_cmp_lt_u32_sdwa s[20:21], v35, s88 src0_sel:BYTE_0 src1_sel:DWORD
	v_sub_u32_sdwa v35, s89, v35 dst_sel:DWORD dst_unused:UNUSED_PAD src0_sel:DWORD src1_sel:BYTE_0
	v_cmp_gt_u32_e64 s[6:7], s94, v38
	v_cmp_eq_u32_sdwa s[16:17], v23, v12 src0_sel:BYTE_0 src1_sel:DWORD
	v_add_u32_sdwa v38, v23, s90 dst_sel:DWORD dst_unused:UNUSED_PAD src0_sel:BYTE_0 src1_sel:DWORD
	v_cmp_lt_u32_sdwa s[22:23], v23, s88 src0_sel:BYTE_0 src1_sel:DWORD
	v_sub_u32_sdwa v23, s89, v23 dst_sel:DWORD dst_unused:UNUSED_PAD src0_sel:DWORD src1_sel:BYTE_0
	v_cndmask_b32_e64 v40, 0, v35, s[20:21]
	v_cndmask_b32_e64 v23, 0, v23, s[22:23]
	;; [unrolled: 1-line block ×3, first 2 shown]
	v_and_b32_e32 v11, 0x7fffff, v30
	v_and_b32_e32 v24, 0x7fffff, v32
	v_cndmask_b32_e64 v51, v38, v50, s[16:17]
	v_cndmask_b32_e64 v53, v23, v49, s[16:17]
	v_add_u32_e32 v38, 20, v52
	v_or_b32_e32 v41, 0x800000, v11
	v_or_b32_e32 v54, 0x800000, v24
	v_cndmask_b32_e64 v35, v39, v50, s[18:19]
	v_add_u32_e32 v40, 20, v53
	v_lshlrev_b64 v[38:39], v38, -1
	v_add_u32_e32 v56, 19, v52
	v_cndmask_b32_e64 v23, v41, v11, s[16:17]
	v_cndmask_b32_e64 v11, v54, v24, s[18:19]
	v_lshlrev_b64 v[40:41], v40, -1
	v_add_u32_e32 v54, 19, v53
	v_lshlrev_b64 v[56:57], v56, 1
	v_mov_b32_e32 v24, v12
	v_bfi_b32 v39, v39, 0, 0
	v_bfi_b32 v38, v38, 0, v11
	v_lshlrev_b64 v[54:55], v54, 1
	v_bfi_b32 v41, v41, 0, 0
	v_bfi_b32 v40, v40, 0, v23
	v_cmp_ne_u64_e64 s[16:17], v[38:39], v[56:57]
	v_lshrrev_b64 v[38:39], v52, v[11:12]
	v_lshrrev_b64 v[23:24], v53, v[23:24]
	v_cmp_ne_u64_e64 s[18:19], v[40:41], v[54:55]
	v_cmp_ne_u32_e64 s[12:13], 0, v32
	v_lshrrev_b32_e32 v11, 23, v38
	v_lshrrev_b32_e32 v24, 23, v23
	v_add3_u32 v51, v53, v51, v24
	v_add3_u32 v52, v52, v35, v11
	v_bfe_u32 v11, v23, 20, 1
	v_bfe_u32 v24, v38, 20, 1
	s_and_b64 s[18:19], s[14:15], s[18:19]
	s_and_b64 s[16:17], s[12:13], s[16:17]
	v_add3_u32 v24, v38, v24, -1
	v_add3_u32 v11, v23, v11, -1
	s_and_b64 s[16:17], s[16:17], s[6:7]
	s_and_b64 s[18:19], s[18:19], s[4:5]
	v_cndmask_b32_e64 v11, v11, v23, s[18:19]
	v_cndmask_b32_e64 v24, v24, v38, s[16:17]
	v_and_b32_e32 v11, 0xfffff, v11
	v_and_b32_e32 v24, 0xfffff, v24
	v_add_u32_e32 v23, v11, v23
	v_add_u32_e32 v11, v24, v38
	v_mov_b32_e32 v24, v12
	v_cmp_lt_u64_e64 s[20:21], s[50:51], v[11:12]
	v_add_u32_e32 v35, 6, v52
	v_cmp_lt_u64_e64 s[22:23], s[50:51], v[23:24]
	v_add_u32_e32 v38, 7, v52
	v_add_u32_e32 v53, 6, v51
	v_cmp_ne_u32_e64 s[18:19], 0, v35
	v_add_u32_e32 v39, 7, v51
	v_cndmask_b32_e64 v35, v35, v38, s[20:21]
	v_lshrrev_b32_e32 v38, 23, v23
	v_lshrrev_b32_e32 v40, 23, v11
	v_cmp_ne_u32_e64 s[16:17], 0, v53
	v_cndmask_b32_e64 v39, v53, v39, s[22:23]
	v_and_b32_e32 v38, 1, v38
	v_and_b32_e32 v40, 1, v40
	v_cndmask_b32_e64 v35, v40, v35, s[18:19]
	v_cndmask_b32_e64 v40, v38, v39, s[16:17]
	s_and_b64 s[16:17], s[16:17], s[22:23]
	s_and_b64 s[18:19], s[18:19], s[20:21]
	v_cndmask_b32_e64 v39, 0, 1, s[16:17]
	v_cndmask_b32_e64 v38, 0, 1, s[18:19]
	v_lshrrev_b64 v[23:24], v39, v[23:24]
	v_lshrrev_b64 v[38:39], v38, v[11:12]
	v_lshrrev_b32_e32 v11, 20, v23
	v_cmp_gt_i32_e64 s[16:17], 16, v40
	v_lshrrev_b32_e32 v24, 20, v38
	v_cndmask_b32_e64 v11, 7, v11, s[16:17]
	v_cmp_gt_i32_e64 s[16:17], 16, v35
	v_cndmask_b32_e64 v23, 7, v24, s[16:17]
	v_mov_b32_e32 v24, v12
	v_cmp_eq_u32_e64 s[18:19], 0, v35
	v_cmp_eq_u64_e64 s[20:21], 0, v[23:24]
	v_min_i32_e32 v24, 15, v35
	v_min_i32_e32 v35, 15, v40
	s_and_b64 s[36:37], s[2:3], s[6:7]
	s_and_b64 s[82:83], vcc, s[4:5]
	v_cmp_eq_u32_e64 s[16:17], 0, v40
	v_cmp_eq_u64_e64 s[22:23], 0, v[11:12]
	v_lshlrev_b32_e32 v35, 3, v35
	s_and_b64 s[14:15], s[82:83], s[14:15]
	s_and_b64 s[12:13], s[36:37], s[12:13]
	v_and_b32_sdwa v34, v32, s87 dst_sel:DWORD dst_unused:UNUSED_PAD src0_sel:BYTE_3 src1_sel:DWORD
	v_lshlrev_b32_e32 v24, 3, v24
	v_or_b32_e32 v35, v35, v33
	s_and_b64 s[18:19], s[12:13], s[18:19]
	s_and_b64 s[12:13], s[14:15], s[16:17]
	v_or_b32_e32 v24, v24, v34
	v_and_or_b32 v11, v11, 7, v35
	s_and_b64 s[12:13], s[12:13], s[22:23]
	v_cmp_eq_u32_e64 s[10:11], 0, v32
	v_and_or_b32 v23, v23, 7, v24
	s_and_b64 s[14:15], s[18:19], s[20:21]
	s_and_b64 s[8:9], s[82:83], s[8:9]
	v_cndmask_b32_e64 v11, v11, v33, s[12:13]
	v_or_b32_e32 v24, 0x7e, v33
	s_and_b64 s[10:11], s[36:37], s[10:11]
	v_cndmask_b32_e64 v23, v23, v34, s[14:15]
	v_cndmask_b32_e64 v11, v11, 0, s[8:9]
	v_or_b32_e32 v35, 0x7e, v34
	v_or_b32_sdwa v30, v30, s91 dst_sel:DWORD dst_unused:UNUSED_PAD src0_sel:BYTE_3 src1_sel:DWORD
	v_cndmask_b32_e64 v23, v23, 0, s[10:11]
	v_cndmask_b32_e64 v11, v24, v11, s[4:5]
	v_or_b32_sdwa v32, v32, s91 dst_sel:DWORD dst_unused:UNUSED_PAD src0_sel:BYTE_3 src1_sel:DWORD
	v_cndmask_b32_e64 v23, v35, v23, s[6:7]
	v_cndmask_b32_e32 v11, v30, v11, vcc
	v_cmp_eq_u32_e32 vcc, 0, v29
	v_cndmask_b32_e64 v23, v32, v23, s[2:3]
	s_or_b64 s[60:61], vcc, s[60:61]
	global_store_byte v[19:20], v23, off
	global_store_byte v[21:22], v11, off
	s_andn2_b64 exec, exec, s[60:61]
	s_cbranch_execnz .LBB19_530
; %bb.531:                              ;   in Loop: Header=BB19_9 Depth=1
	s_or_b64 exec, exec, s[60:61]
	v_cmp_ne_u32_e32 vcc, v4, v25
	v_lshl_add_u32 v1, v25, 5, v1
	s_orn2_b64 s[2:3], vcc, exec
.LBB19_532:                             ;   in Loop: Header=BB19_9 Depth=1
	s_or_b64 exec, exec, s[58:59]
	s_and_b64 exec, exec, s[2:3]
	s_cbranch_execz .LBB19_555
; %bb.533:                              ;   in Loop: Header=BB19_9 Depth=1
	v_ashrrev_i32_e32 v2, 31, v1
	v_lshlrev_b64 v[3:4], 1, v[1:2]
	v_mov_b32_e32 v10, s85
	v_add_co_u32_e32 v3, vcc, v17, v3
	v_addc_co_u32_e32 v4, vcc, v18, v4, vcc
	v_add_co_u32_e32 v3, vcc, v3, v13
	v_addc_co_u32_e32 v4, vcc, v4, v14, vcc
	;; [unrolled: 2-line block ×5, first 2 shown]
	s_mov_b64 s[4:5], 0
	s_branch .LBB19_535
.LBB19_534:                             ;   in Loop: Header=BB19_535 Depth=2
	s_or_b64 exec, exec, s[2:3]
	v_add_co_u32_e32 v3, vcc, 64, v3
	v_add_u32_e32 v1, 32, v1
	v_addc_co_u32_e32 v4, vcc, 0, v4, vcc
	v_cmp_ge_i32_e32 vcc, v1, v31
	global_store_byte v[13:14], v11, off
	s_or_b64 s[4:5], vcc, s[4:5]
	v_add_co_u32_e32 v13, vcc, 32, v13
	v_addc_co_u32_e32 v14, vcc, 0, v14, vcc
	s_andn2_b64 exec, exec, s[4:5]
	s_cbranch_execz .LBB19_555
.LBB19_535:                             ;   Parent Loop BB19_9 Depth=1
                                        ; =>  This Inner Loop Header: Depth=2
	global_load_ushort v2, v[3:4], off
	s_waitcnt vmcnt(0)
	v_lshlrev_b32_e32 v2, 16, v2
	v_div_scale_f32 v10, s[2:3], s33, s33, v2
	v_div_scale_f32 v11, vcc, v2, s33, v2
	v_rcp_f32_e32 v15, v10
	v_fma_f32 v16, -v10, v15, 1.0
	v_fmac_f32_e32 v15, v16, v15
	v_mul_f32_e32 v16, v11, v15
	v_fma_f32 v17, -v10, v16, v11
	v_fmac_f32_e32 v16, v17, v15
	v_fma_f32 v10, -v10, v16, v11
	v_div_fmas_f32 v10, v10, v15, v16
	v_div_fixup_f32 v10, v10, s33, v2
	v_and_b32_e32 v11, 0x7f800000, v10
	v_cmp_ne_u64_e32 vcc, s[46:47], v[11:12]
                                        ; implicit-def: $vgpr11
	s_and_saveexec_b64 s[2:3], vcc
	s_xor_b64 s[6:7], exec, s[2:3]
	s_cbranch_execz .LBB19_553
; %bb.536:                              ;   in Loop: Header=BB19_535 Depth=2
	v_and_b32_e32 v11, 0x7fffffff, v10
	v_cmp_gt_u64_e32 vcc, s[48:49], v[11:12]
	v_and_b32_sdwa v2, v10, s87 dst_sel:DWORD dst_unused:UNUSED_PAD src0_sel:BYTE_3 src1_sel:DWORD
                                        ; implicit-def: $vgpr11
	s_and_saveexec_b64 s[2:3], vcc
	s_xor_b64 s[8:9], exec, s[2:3]
	s_cbranch_execz .LBB19_550
; %bb.537:                              ;   in Loop: Header=BB19_535 Depth=2
	v_cmp_ne_u32_e32 vcc, 0, v10
	v_mov_b32_e32 v11, 0
	s_and_saveexec_b64 s[10:11], vcc
	s_cbranch_execz .LBB19_549
; %bb.538:                              ;   in Loop: Header=BB19_535 Depth=2
	v_bfe_u32 v17, v10, 23, 8
	v_and_b32_e32 v11, 0x7fffff, v10
	v_sub_u32_e32 v10, 0x79, v17
	v_cmp_gt_u32_e32 vcc, s88, v17
	v_cndmask_b32_e32 v10, 0, v10, vcc
	v_cmp_eq_u32_e32 vcc, 0, v17
	v_cndmask_b32_e32 v18, v10, v49, vcc
	v_add_u32_e32 v10, 20, v18
	v_or_b32_e32 v19, 0x800000, v11
	v_lshlrev_b64 v[15:16], v10, -1
	v_cndmask_b32_e32 v11, v19, v11, vcc
	v_add_u32_e32 v10, 19, v18
	v_bfi_b32 v15, v15, 0, v11
	v_lshlrev_b64 v[19:20], v10, 1
	v_lshrrev_b64 v[10:11], v18, v[11:12]
	v_bfi_b32 v16, v16, 0, 0
	v_cmp_eq_u64_e64 s[2:3], v[15:16], v[19:20]
	v_mov_b32_e32 v16, v11
	v_mov_b32_e32 v15, v10
	s_and_saveexec_b64 s[12:13], s[2:3]
; %bb.539:                              ;   in Loop: Header=BB19_535 Depth=2
	v_bfe_u32 v11, v10, 20, 1
	v_add_co_u32_e64 v11, s[2:3], v10, v11
	v_add_co_u32_e64 v15, s[2:3], -1, v11
; %bb.540:                              ;   in Loop: Header=BB19_535 Depth=2
	s_or_b64 exec, exec, s[12:13]
	v_add_u32_e32 v11, 0xffffff81, v17
	v_cndmask_b32_e32 v11, v11, v50, vcc
	v_lshrrev_b32_e32 v16, 23, v10
	v_add3_u32 v19, v18, v11, v16
	v_add_u32_e32 v18, 6, v19
	v_and_b32_e32 v11, 0xfffff, v15
	v_add_u32_e32 v11, v11, v10
	v_cmp_ne_u32_e32 vcc, 0, v18
                                        ; implicit-def: $vgpr15_vgpr16
                                        ; implicit-def: $vgpr17
	s_and_saveexec_b64 s[2:3], vcc
	s_xor_b64 s[2:3], exec, s[2:3]
; %bb.541:                              ;   in Loop: Header=BB19_535 Depth=2
	v_cmp_lt_u64_e32 vcc, s[50:51], v[11:12]
	v_add_u32_e32 v10, 7, v19
	v_cndmask_b32_e32 v17, v18, v10, vcc
	v_cndmask_b32_e64 v10, 0, 1, vcc
	v_lshrrev_b64 v[15:16], v10, v[11:12]
; %bb.542:                              ;   in Loop: Header=BB19_535 Depth=2
	s_andn2_saveexec_b64 s[2:3], s[2:3]
; %bb.543:                              ;   in Loop: Header=BB19_535 Depth=2
	v_mov_b32_e32 v16, v12
	v_bfe_u32 v17, v11, 23, 1
	v_mov_b32_e32 v15, v11
; %bb.544:                              ;   in Loop: Header=BB19_535 Depth=2
	s_or_b64 exec, exec, s[2:3]
	v_lshrrev_b64 v[10:11], 20, v[15:16]
	v_cmp_gt_i32_e32 vcc, 16, v17
	v_cndmask_b32_e32 v11, 0, v11, vcc
	v_cndmask_b32_e32 v10, 7, v10, vcc
	v_cmp_ne_u64_e32 vcc, 0, v[10:11]
	v_cmp_ne_u32_e64 s[2:3], 0, v17
	s_or_b64 s[2:3], s[2:3], vcc
                                        ; implicit-def: $vgpr11
	s_and_saveexec_b64 s[12:13], s[2:3]
	s_xor_b64 s[2:3], exec, s[12:13]
; %bb.545:                              ;   in Loop: Header=BB19_535 Depth=2
	v_min_i32_e32 v11, 15, v17
	v_lshl_or_b32 v2, v11, 3, v2
	v_and_or_b32 v11, v10, 7, v2
                                        ; implicit-def: $vgpr2
; %bb.546:                              ;   in Loop: Header=BB19_535 Depth=2
	s_andn2_saveexec_b64 s[2:3], s[2:3]
; %bb.547:                              ;   in Loop: Header=BB19_535 Depth=2
	v_mov_b32_e32 v11, v2
; %bb.548:                              ;   in Loop: Header=BB19_535 Depth=2
	s_or_b64 exec, exec, s[2:3]
.LBB19_549:                             ;   in Loop: Header=BB19_535 Depth=2
	s_or_b64 exec, exec, s[10:11]
                                        ; implicit-def: $vgpr2
.LBB19_550:                             ;   in Loop: Header=BB19_535 Depth=2
	s_andn2_saveexec_b64 s[2:3], s[8:9]
; %bb.551:                              ;   in Loop: Header=BB19_535 Depth=2
	v_or_b32_e32 v11, 0x7e, v2
; %bb.552:                              ;   in Loop: Header=BB19_535 Depth=2
	s_or_b64 exec, exec, s[2:3]
                                        ; implicit-def: $vgpr10
.LBB19_553:                             ;   in Loop: Header=BB19_535 Depth=2
	s_andn2_saveexec_b64 s[2:3], s[6:7]
	s_cbranch_execz .LBB19_534
; %bb.554:                              ;   in Loop: Header=BB19_535 Depth=2
	v_or_b32_sdwa v11, v10, s91 dst_sel:DWORD dst_unused:UNUSED_PAD src0_sel:BYTE_3 src1_sel:DWORD
	s_branch .LBB19_534
.LBB19_555:                             ;   in Loop: Header=BB19_9 Depth=1
	s_or_b64 exec, exec, s[56:57]
                                        ; implicit-def: $vgpr13_vgpr14
.LBB19_556:                             ;   in Loop: Header=BB19_9 Depth=1
	s_andn2_saveexec_b64 s[4:5], s[54:55]
	s_cbranch_execz .LBB19_8
; %bb.557:                              ;   in Loop: Header=BB19_9 Depth=1
	s_and_saveexec_b64 s[6:7], s[0:1]
	s_cbranch_execz .LBB19_7
; %bb.558:                              ;   in Loop: Header=BB19_9 Depth=1
	s_waitcnt vmcnt(2)
	v_add_co_u32_e32 v13, vcc, v48, v13
	v_mov_b32_e32 v16, v8
	s_waitcnt vmcnt(1)
	v_addc_co_u32_e32 v14, vcc, v60, v14, vcc
	s_mov_b64 s[8:9], 0
	v_mov_b32_e32 v15, v7
	v_mov_b32_e32 v25, v37
	s_branch .LBB19_560
.LBB19_559:                             ;   in Loop: Header=BB19_560 Depth=2
	s_or_b64 exec, exec, s[2:3]
	v_lshlrev_b32_e32 v4, 16, v20
	v_lshlrev_b32_e32 v3, 24, v21
	v_and_b32_e32 v4, 0xff0000, v4
	v_lshlrev_b32_e32 v2, 8, v2
	v_or_b32_e32 v3, v3, v4
	v_and_b32_e32 v2, 0xff00, v2
	v_and_b32_e32 v4, 0xff, v19
	v_or3_b32 v2, v3, v2, v4
	v_lshlrev_b32_e32 v3, 16, v18
	v_lshlrev_b32_e32 v4, 8, v17
	v_perm_b32 v1, v1, v3, s93
	v_and_or_b32 v1, v4, s92, v1
	v_or_b32_sdwa v1, v1, v10 dst_sel:DWORD dst_unused:UNUSED_PAD src0_sel:DWORD src1_sel:BYTE_0
	global_store_dwordx2 v[15:16], v[1:2], off
	v_add_co_u32_e32 v15, vcc, 0x100, v15
	v_add_u32_e32 v25, 32, v25
	v_addc_co_u32_e32 v16, vcc, 0, v16, vcc
	v_add_co_u32_e32 v13, vcc, 0x200, v13
	v_cmp_le_i32_e64 s[2:3], s77, v25
	s_or_b64 s[8:9], s[2:3], s[8:9]
	v_addc_co_u32_e32 v14, vcc, 0, v14, vcc
	s_andn2_b64 exec, exec, s[8:9]
	s_cbranch_execz .LBB19_7
.LBB19_560:                             ;   Parent Loop BB19_9 Depth=1
                                        ; =>  This Inner Loop Header: Depth=2
	global_load_dwordx4 v[1:4], v[13:14], off
	s_waitcnt vmcnt(0)
	v_lshlrev_b32_e32 v10, 16, v1
	v_div_scale_f32 v11, s[2:3], s33, s33, v10
	v_div_scale_f32 v17, vcc, v10, s33, v10
	v_rcp_f32_e32 v18, v11
	v_fma_f32 v19, -v11, v18, 1.0
	v_fmac_f32_e32 v18, v19, v18
	v_mul_f32_e32 v19, v17, v18
	v_fma_f32 v20, -v11, v19, v17
	v_fmac_f32_e32 v19, v20, v18
	v_fma_f32 v11, -v11, v19, v17
	v_div_fmas_f32 v11, v11, v18, v19
	v_div_fixup_f32 v18, v11, s33, v10
	v_and_b32_e32 v11, 0x7f800000, v18
	v_cmp_ne_u64_e32 vcc, s[46:47], v[11:12]
                                        ; implicit-def: $vgpr10_vgpr11
	s_and_saveexec_b64 s[2:3], vcc
	s_xor_b64 s[10:11], exec, s[2:3]
	s_cbranch_execz .LBB19_576
; %bb.561:                              ;   in Loop: Header=BB19_560 Depth=2
	v_and_b32_e32 v11, 0x7fffffff, v18
	v_cmp_gt_u64_e32 vcc, s[48:49], v[11:12]
	v_and_b32_sdwa v17, v18, s87 dst_sel:DWORD dst_unused:UNUSED_PAD src0_sel:BYTE_3 src1_sel:DWORD
                                        ; implicit-def: $vgpr10_vgpr11
	s_and_saveexec_b64 s[2:3], vcc
	s_xor_b64 s[12:13], exec, s[2:3]
	s_cbranch_execz .LBB19_573
; %bb.562:                              ;   in Loop: Header=BB19_560 Depth=2
	v_mov_b32_e32 v10, 0
	v_cmp_ne_u32_e32 vcc, 0, v18
	v_mov_b32_e32 v11, 0
	s_and_saveexec_b64 s[14:15], vcc
	s_cbranch_execz .LBB19_572
; %bb.563:                              ;   in Loop: Header=BB19_560 Depth=2
	v_bfe_u32 v20, v18, 23, 8
	v_sub_u32_e32 v11, 0x79, v20
	v_cmp_gt_u32_e32 vcc, s88, v20
	v_cndmask_b32_e32 v11, 0, v11, vcc
	v_cmp_eq_u32_e32 vcc, 0, v20
	v_cndmask_b32_e32 v21, v11, v49, vcc
	v_and_b32_e32 v10, 0x7fffff, v18
	v_add_u32_e32 v11, 20, v21
	v_or_b32_e32 v22, 0x800000, v10
	v_lshlrev_b64 v[18:19], v11, -1
	v_cndmask_b32_e32 v11, v22, v10, vcc
	v_add_u32_e32 v10, 19, v21
	v_bfi_b32 v18, v18, 0, v11
	v_lshlrev_b64 v[22:23], v10, 1
	v_lshrrev_b64 v[10:11], v21, v[11:12]
	v_bfi_b32 v19, v19, 0, 0
	v_cmp_eq_u64_e64 s[2:3], v[18:19], v[22:23]
	v_mov_b32_e32 v19, v11
	v_mov_b32_e32 v18, v10
	s_and_saveexec_b64 s[16:17], s[2:3]
; %bb.564:                              ;   in Loop: Header=BB19_560 Depth=2
	v_bfe_u32 v11, v10, 20, 1
	v_add_co_u32_e64 v11, s[2:3], v10, v11
	v_add_co_u32_e64 v18, s[2:3], -1, v11
; %bb.565:                              ;   in Loop: Header=BB19_560 Depth=2
	s_or_b64 exec, exec, s[16:17]
	v_add_u32_e32 v11, 0xffffff81, v20
	v_cndmask_b32_e32 v11, v11, v50, vcc
	v_lshrrev_b32_e32 v19, 23, v10
	v_add3_u32 v22, v21, v11, v19
	v_add_u32_e32 v21, 6, v22
	v_and_b32_e32 v11, 0xfffff, v18
	v_add_u32_e32 v11, v11, v10
	v_cmp_ne_u32_e32 vcc, 0, v21
                                        ; implicit-def: $vgpr18_vgpr19
                                        ; implicit-def: $vgpr20
	s_and_saveexec_b64 s[2:3], vcc
	s_xor_b64 s[2:3], exec, s[2:3]
; %bb.566:                              ;   in Loop: Header=BB19_560 Depth=2
	v_cmp_lt_u64_e32 vcc, s[50:51], v[11:12]
	v_add_u32_e32 v10, 7, v22
	v_cndmask_b32_e32 v20, v21, v10, vcc
	v_cndmask_b32_e64 v10, 0, 1, vcc
	v_lshrrev_b64 v[18:19], v10, v[11:12]
; %bb.567:                              ;   in Loop: Header=BB19_560 Depth=2
	s_andn2_saveexec_b64 s[2:3], s[2:3]
; %bb.568:                              ;   in Loop: Header=BB19_560 Depth=2
	v_mov_b32_e32 v19, v12
	v_bfe_u32 v20, v11, 23, 1
	v_mov_b32_e32 v18, v11
; %bb.569:                              ;   in Loop: Header=BB19_560 Depth=2
	s_or_b64 exec, exec, s[2:3]
	v_lshrrev_b64 v[10:11], 20, v[18:19]
	v_cmp_gt_i32_e32 vcc, 16, v20
	v_cndmask_b32_e32 v19, 0, v11, vcc
	v_cndmask_b32_e32 v18, 7, v10, vcc
	v_cmp_ne_u64_e32 vcc, 0, v[18:19]
	v_cmp_ne_u32_e64 s[2:3], 0, v20
	s_or_b64 s[2:3], s[2:3], vcc
	v_mov_b32_e32 v10, v17
	v_mov_b32_e32 v11, v18
	s_and_saveexec_b64 s[16:17], s[2:3]
	s_xor_b64 s[2:3], exec, s[16:17]
; %bb.570:                              ;   in Loop: Header=BB19_560 Depth=2
	v_min_i32_e32 v10, 15, v20
	v_lshl_or_b32 v10, v10, 3, v17
	v_and_or_b32 v10, v18, 7, v10
; %bb.571:                              ;   in Loop: Header=BB19_560 Depth=2
	s_andn2_saveexec_b64 s[2:3], s[2:3]
	s_or_b64 exec, exec, s[2:3]
.LBB19_572:                             ;   in Loop: Header=BB19_560 Depth=2
	s_or_b64 exec, exec, s[14:15]
                                        ; implicit-def: $vgpr17
.LBB19_573:                             ;   in Loop: Header=BB19_560 Depth=2
	s_andn2_saveexec_b64 s[2:3], s[12:13]
; %bb.574:                              ;   in Loop: Header=BB19_560 Depth=2
	v_or_b32_e32 v10, 0x7e, v17
; %bb.575:                              ;   in Loop: Header=BB19_560 Depth=2
	s_or_b64 exec, exec, s[2:3]
                                        ; implicit-def: $vgpr18
.LBB19_576:                             ;   in Loop: Header=BB19_560 Depth=2
	s_andn2_saveexec_b64 s[2:3], s[10:11]
; %bb.577:                              ;   in Loop: Header=BB19_560 Depth=2
	v_or_b32_sdwa v10, v18, s91 dst_sel:DWORD dst_unused:UNUSED_PAD src0_sel:BYTE_3 src1_sel:DWORD
; %bb.578:                              ;   in Loop: Header=BB19_560 Depth=2
	s_or_b64 exec, exec, s[2:3]
	v_and_b32_e32 v1, 0xffff0000, v1
	v_div_scale_f32 v11, s[2:3], s33, s33, v1
	v_div_scale_f32 v17, vcc, v1, s33, v1
	v_rcp_f32_e32 v18, v11
	v_fma_f32 v19, -v11, v18, 1.0
	v_fmac_f32_e32 v18, v19, v18
	v_mul_f32_e32 v19, v17, v18
	v_fma_f32 v20, -v11, v19, v17
	v_fmac_f32_e32 v19, v20, v18
	v_fma_f32 v11, -v11, v19, v17
	v_div_fmas_f32 v11, v11, v18, v19
                                        ; implicit-def: $vgpr17_vgpr18
	v_div_fixup_f32 v19, v11, s33, v1
	v_and_b32_e32 v11, 0x7f800000, v19
	v_cmp_ne_u64_e32 vcc, s[46:47], v[11:12]
	s_and_saveexec_b64 s[2:3], vcc
	s_xor_b64 s[10:11], exec, s[2:3]
	s_cbranch_execz .LBB19_594
; %bb.579:                              ;   in Loop: Header=BB19_560 Depth=2
	v_and_b32_e32 v11, 0x7fffffff, v19
	v_cmp_gt_u64_e32 vcc, s[48:49], v[11:12]
	v_and_b32_sdwa v1, v19, s87 dst_sel:DWORD dst_unused:UNUSED_PAD src0_sel:BYTE_3 src1_sel:DWORD
                                        ; implicit-def: $vgpr17_vgpr18
	s_and_saveexec_b64 s[2:3], vcc
	s_xor_b64 s[12:13], exec, s[2:3]
	s_cbranch_execz .LBB19_591
; %bb.580:                              ;   in Loop: Header=BB19_560 Depth=2
	v_mov_b32_e32 v17, 0
	v_cmp_ne_u32_e32 vcc, 0, v19
	v_mov_b32_e32 v18, 0
	s_and_saveexec_b64 s[14:15], vcc
	s_cbranch_execz .LBB19_590
; %bb.581:                              ;   in Loop: Header=BB19_560 Depth=2
	v_bfe_u32 v20, v19, 23, 8
	v_sub_u32_e32 v17, 0x79, v20
	v_cmp_gt_u32_e32 vcc, s88, v20
	v_cndmask_b32_e32 v17, 0, v17, vcc
	v_cmp_eq_u32_e32 vcc, 0, v20
	v_cndmask_b32_e32 v21, v17, v49, vcc
	v_and_b32_e32 v11, 0x7fffff, v19
	v_add_u32_e32 v17, 20, v21
	v_or_b32_e32 v19, 0x800000, v11
	v_lshlrev_b64 v[17:18], v17, -1
	v_cndmask_b32_e32 v11, v19, v11, vcc
	v_bfi_b32 v22, v17, 0, v11
	v_add_u32_e32 v17, 19, v21
	v_bfi_b32 v23, v18, 0, 0
	v_lshlrev_b64 v[26:27], v17, 1
	v_lshrrev_b64 v[17:18], v21, v[11:12]
	v_cmp_eq_u64_e64 s[2:3], v[22:23], v[26:27]
	v_mov_b32_e32 v19, v18
	v_mov_b32_e32 v18, v17
	s_and_saveexec_b64 s[16:17], s[2:3]
; %bb.582:                              ;   in Loop: Header=BB19_560 Depth=2
	v_bfe_u32 v11, v17, 20, 1
	v_add_co_u32_e64 v11, s[2:3], v17, v11
	v_add_co_u32_e64 v18, s[2:3], -1, v11
; %bb.583:                              ;   in Loop: Header=BB19_560 Depth=2
	s_or_b64 exec, exec, s[16:17]
	v_add_u32_e32 v11, 0xffffff81, v20
	v_cndmask_b32_e32 v11, v11, v50, vcc
	v_lshrrev_b32_e32 v19, 23, v17
	v_add3_u32 v20, v21, v11, v19
	v_add_u32_e32 v19, 6, v20
	v_and_b32_e32 v11, 0xfffff, v18
	v_add_u32_e32 v11, v11, v17
	v_cmp_ne_u32_e32 vcc, 0, v19
                                        ; implicit-def: $vgpr17_vgpr18
                                        ; implicit-def: $vgpr21
	s_and_saveexec_b64 s[2:3], vcc
	s_xor_b64 s[2:3], exec, s[2:3]
; %bb.584:                              ;   in Loop: Header=BB19_560 Depth=2
	v_cmp_lt_u64_e32 vcc, s[50:51], v[11:12]
	v_add_u32_e32 v17, 7, v20
	v_cndmask_b32_e32 v21, v19, v17, vcc
	v_cndmask_b32_e64 v17, 0, 1, vcc
	v_lshrrev_b64 v[17:18], v17, v[11:12]
; %bb.585:                              ;   in Loop: Header=BB19_560 Depth=2
	s_andn2_saveexec_b64 s[2:3], s[2:3]
; %bb.586:                              ;   in Loop: Header=BB19_560 Depth=2
	v_mov_b32_e32 v18, v12
	v_bfe_u32 v21, v11, 23, 1
	v_mov_b32_e32 v17, v11
; %bb.587:                              ;   in Loop: Header=BB19_560 Depth=2
	s_or_b64 exec, exec, s[2:3]
	v_lshrrev_b64 v[17:18], 20, v[17:18]
	v_cmp_gt_i32_e32 vcc, 16, v21
	v_cndmask_b32_e32 v20, 0, v18, vcc
	v_cndmask_b32_e32 v19, 7, v17, vcc
	v_cmp_ne_u64_e32 vcc, 0, v[19:20]
	v_cmp_ne_u32_e64 s[2:3], 0, v21
	v_mov_b32_e32 v18, v2
	s_or_b64 s[2:3], s[2:3], vcc
	v_mov_b32_e32 v17, v1
	s_and_saveexec_b64 s[16:17], s[2:3]
	s_xor_b64 s[2:3], exec, s[16:17]
; %bb.588:                              ;   in Loop: Header=BB19_560 Depth=2
	v_min_i32_e32 v11, 15, v21
	v_lshl_or_b32 v1, v11, 3, v1
	v_and_or_b32 v17, v19, 7, v1
; %bb.589:                              ;   in Loop: Header=BB19_560 Depth=2
	s_andn2_saveexec_b64 s[2:3], s[2:3]
	s_or_b64 exec, exec, s[2:3]
.LBB19_590:                             ;   in Loop: Header=BB19_560 Depth=2
	s_or_b64 exec, exec, s[14:15]
                                        ; implicit-def: $vgpr1
.LBB19_591:                             ;   in Loop: Header=BB19_560 Depth=2
	s_andn2_saveexec_b64 s[2:3], s[12:13]
; %bb.592:                              ;   in Loop: Header=BB19_560 Depth=2
	v_or_b32_e32 v17, 0x7e, v1
; %bb.593:                              ;   in Loop: Header=BB19_560 Depth=2
	s_or_b64 exec, exec, s[2:3]
                                        ; implicit-def: $vgpr19
.LBB19_594:                             ;   in Loop: Header=BB19_560 Depth=2
	s_andn2_saveexec_b64 s[2:3], s[10:11]
; %bb.595:                              ;   in Loop: Header=BB19_560 Depth=2
	v_or_b32_sdwa v17, v19, s91 dst_sel:DWORD dst_unused:UNUSED_PAD src0_sel:BYTE_3 src1_sel:DWORD
; %bb.596:                              ;   in Loop: Header=BB19_560 Depth=2
	s_or_b64 exec, exec, s[2:3]
	v_lshlrev_b32_e32 v1, 16, v2
	v_div_scale_f32 v11, s[2:3], s33, s33, v1
	v_div_scale_f32 v18, vcc, v1, s33, v1
	v_rcp_f32_e32 v19, v11
	v_fma_f32 v20, -v11, v19, 1.0
	v_fmac_f32_e32 v19, v20, v19
	v_mul_f32_e32 v20, v18, v19
	v_fma_f32 v21, -v11, v20, v18
	v_fmac_f32_e32 v20, v21, v19
	v_fma_f32 v11, -v11, v20, v18
	v_div_fmas_f32 v11, v11, v19, v20
                                        ; implicit-def: $vgpr18_vgpr19
	v_div_fixup_f32 v20, v11, s33, v1
	v_and_b32_e32 v11, 0x7f800000, v20
	v_cmp_ne_u64_e32 vcc, s[46:47], v[11:12]
	s_and_saveexec_b64 s[2:3], vcc
	s_xor_b64 s[10:11], exec, s[2:3]
	s_cbranch_execz .LBB19_612
; %bb.597:                              ;   in Loop: Header=BB19_560 Depth=2
	v_and_b32_e32 v11, 0x7fffffff, v20
	v_cmp_gt_u64_e32 vcc, s[48:49], v[11:12]
	v_and_b32_sdwa v1, v20, s87 dst_sel:DWORD dst_unused:UNUSED_PAD src0_sel:BYTE_3 src1_sel:DWORD
                                        ; implicit-def: $vgpr18_vgpr19
	s_and_saveexec_b64 s[2:3], vcc
	s_xor_b64 s[12:13], exec, s[2:3]
	s_cbranch_execz .LBB19_609
; %bb.598:                              ;   in Loop: Header=BB19_560 Depth=2
	v_mov_b32_e32 v18, 0
	v_cmp_ne_u32_e32 vcc, 0, v20
	v_mov_b32_e32 v19, 0
	s_and_saveexec_b64 s[14:15], vcc
	s_cbranch_execz .LBB19_608
; %bb.599:                              ;   in Loop: Header=BB19_560 Depth=2
	v_bfe_u32 v21, v20, 23, 8
	v_sub_u32_e32 v18, 0x79, v21
	v_cmp_gt_u32_e32 vcc, s88, v21
	v_cndmask_b32_e32 v18, 0, v18, vcc
	v_cmp_eq_u32_e32 vcc, 0, v21
	v_cndmask_b32_e32 v22, v18, v49, vcc
	v_and_b32_e32 v11, 0x7fffff, v20
	v_add_u32_e32 v18, 20, v22
	v_or_b32_e32 v20, 0x800000, v11
	v_lshlrev_b64 v[18:19], v18, -1
	v_cndmask_b32_e32 v11, v20, v11, vcc
	v_bfi_b32 v23, v18, 0, v11
	v_add_u32_e32 v18, 19, v22
	v_bfi_b32 v24, v19, 0, 0
	v_lshlrev_b64 v[26:27], v18, 1
	v_lshrrev_b64 v[18:19], v22, v[11:12]
	v_cmp_eq_u64_e64 s[2:3], v[23:24], v[26:27]
	v_mov_b32_e32 v20, v19
	v_mov_b32_e32 v19, v18
	s_and_saveexec_b64 s[16:17], s[2:3]
; %bb.600:                              ;   in Loop: Header=BB19_560 Depth=2
	v_bfe_u32 v11, v18, 20, 1
	v_add_co_u32_e64 v11, s[2:3], v18, v11
	v_add_co_u32_e64 v19, s[2:3], -1, v11
; %bb.601:                              ;   in Loop: Header=BB19_560 Depth=2
	s_or_b64 exec, exec, s[16:17]
	v_add_u32_e32 v11, 0xffffff81, v21
	v_cndmask_b32_e32 v11, v11, v50, vcc
	v_lshrrev_b32_e32 v20, 23, v18
	v_add3_u32 v21, v22, v11, v20
	v_add_u32_e32 v20, 6, v21
	v_and_b32_e32 v11, 0xfffff, v19
	v_add_u32_e32 v11, v11, v18
	v_cmp_ne_u32_e32 vcc, 0, v20
                                        ; implicit-def: $vgpr18_vgpr19
                                        ; implicit-def: $vgpr22
	s_and_saveexec_b64 s[2:3], vcc
	s_xor_b64 s[2:3], exec, s[2:3]
; %bb.602:                              ;   in Loop: Header=BB19_560 Depth=2
	v_cmp_lt_u64_e32 vcc, s[50:51], v[11:12]
	v_add_u32_e32 v18, 7, v21
	v_cndmask_b32_e32 v22, v20, v18, vcc
	v_cndmask_b32_e64 v18, 0, 1, vcc
	v_lshrrev_b64 v[18:19], v18, v[11:12]
; %bb.603:                              ;   in Loop: Header=BB19_560 Depth=2
	s_andn2_saveexec_b64 s[2:3], s[2:3]
; %bb.604:                              ;   in Loop: Header=BB19_560 Depth=2
	v_mov_b32_e32 v19, v12
	v_bfe_u32 v22, v11, 23, 1
	v_mov_b32_e32 v18, v11
; %bb.605:                              ;   in Loop: Header=BB19_560 Depth=2
	s_or_b64 exec, exec, s[2:3]
	v_lshrrev_b64 v[18:19], 20, v[18:19]
	v_cmp_gt_i32_e32 vcc, 16, v22
	v_cndmask_b32_e32 v21, 0, v19, vcc
	v_cndmask_b32_e32 v20, 7, v18, vcc
	v_cmp_ne_u64_e32 vcc, 0, v[20:21]
	v_cmp_ne_u32_e64 s[2:3], 0, v22
	v_mov_b32_e32 v19, v2
	s_or_b64 s[2:3], s[2:3], vcc
	v_mov_b32_e32 v18, v1
	s_and_saveexec_b64 s[16:17], s[2:3]
	s_xor_b64 s[2:3], exec, s[16:17]
; %bb.606:                              ;   in Loop: Header=BB19_560 Depth=2
	v_min_i32_e32 v11, 15, v22
	v_lshl_or_b32 v1, v11, 3, v1
	v_and_or_b32 v18, v20, 7, v1
; %bb.607:                              ;   in Loop: Header=BB19_560 Depth=2
	s_andn2_saveexec_b64 s[2:3], s[2:3]
	s_or_b64 exec, exec, s[2:3]
.LBB19_608:                             ;   in Loop: Header=BB19_560 Depth=2
	s_or_b64 exec, exec, s[14:15]
                                        ; implicit-def: $vgpr1
.LBB19_609:                             ;   in Loop: Header=BB19_560 Depth=2
	s_andn2_saveexec_b64 s[2:3], s[12:13]
; %bb.610:                              ;   in Loop: Header=BB19_560 Depth=2
	v_or_b32_e32 v18, 0x7e, v1
; %bb.611:                              ;   in Loop: Header=BB19_560 Depth=2
	s_or_b64 exec, exec, s[2:3]
                                        ; implicit-def: $vgpr20
.LBB19_612:                             ;   in Loop: Header=BB19_560 Depth=2
	s_andn2_saveexec_b64 s[2:3], s[10:11]
; %bb.613:                              ;   in Loop: Header=BB19_560 Depth=2
	v_or_b32_sdwa v18, v20, s91 dst_sel:DWORD dst_unused:UNUSED_PAD src0_sel:BYTE_3 src1_sel:DWORD
; %bb.614:                              ;   in Loop: Header=BB19_560 Depth=2
	s_or_b64 exec, exec, s[2:3]
	v_and_b32_e32 v1, 0xffff0000, v2
	v_div_scale_f32 v2, s[2:3], s33, s33, v1
	v_div_scale_f32 v11, vcc, v1, s33, v1
	v_rcp_f32_e32 v19, v2
	v_fma_f32 v20, -v2, v19, 1.0
	v_fmac_f32_e32 v19, v20, v19
	v_mul_f32_e32 v20, v11, v19
	v_fma_f32 v21, -v2, v20, v11
	v_fmac_f32_e32 v20, v21, v19
	v_fma_f32 v2, -v2, v20, v11
	v_div_fmas_f32 v2, v2, v19, v20
	v_div_fixup_f32 v20, v2, s33, v1
	v_and_b32_e32 v11, 0x7f800000, v20
	v_cmp_ne_u64_e32 vcc, s[46:47], v[11:12]
                                        ; implicit-def: $vgpr1_vgpr2
	s_and_saveexec_b64 s[2:3], vcc
	s_xor_b64 s[10:11], exec, s[2:3]
	s_cbranch_execz .LBB19_630
; %bb.615:                              ;   in Loop: Header=BB19_560 Depth=2
	v_and_b32_e32 v11, 0x7fffffff, v20
	v_cmp_gt_u64_e32 vcc, s[48:49], v[11:12]
	v_and_b32_sdwa v19, v20, s87 dst_sel:DWORD dst_unused:UNUSED_PAD src0_sel:BYTE_3 src1_sel:DWORD
                                        ; implicit-def: $vgpr1_vgpr2
	s_and_saveexec_b64 s[2:3], vcc
	s_xor_b64 s[12:13], exec, s[2:3]
	s_cbranch_execz .LBB19_627
; %bb.616:                              ;   in Loop: Header=BB19_560 Depth=2
	v_mov_b32_e32 v1, 0
	v_cmp_ne_u32_e32 vcc, 0, v20
	v_mov_b32_e32 v2, 0
	s_and_saveexec_b64 s[14:15], vcc
	s_cbranch_execz .LBB19_626
; %bb.617:                              ;   in Loop: Header=BB19_560 Depth=2
	v_bfe_u32 v22, v20, 23, 8
	v_sub_u32_e32 v1, 0x79, v22
	v_cmp_gt_u32_e32 vcc, s88, v22
	v_cndmask_b32_e32 v1, 0, v1, vcc
	v_cmp_eq_u32_e32 vcc, 0, v22
	v_cndmask_b32_e32 v23, v1, v49, vcc
	v_and_b32_e32 v11, 0x7fffff, v20
	v_add_u32_e32 v1, 20, v23
	v_or_b32_e32 v20, 0x800000, v11
	v_lshlrev_b64 v[1:2], v1, -1
	v_cndmask_b32_e32 v11, v20, v11, vcc
	v_bfi_b32 v20, v1, 0, v11
	v_add_u32_e32 v1, 19, v23
	v_bfi_b32 v21, v2, 0, 0
	v_lshlrev_b64 v[26:27], v1, 1
	v_lshrrev_b64 v[1:2], v23, v[11:12]
	v_cmp_eq_u64_e64 s[2:3], v[20:21], v[26:27]
	v_mov_b32_e32 v21, v2
	v_mov_b32_e32 v20, v1
	s_and_saveexec_b64 s[16:17], s[2:3]
; %bb.618:                              ;   in Loop: Header=BB19_560 Depth=2
	v_bfe_u32 v2, v1, 20, 1
	v_add_co_u32_e64 v2, s[2:3], v1, v2
	v_add_co_u32_e64 v20, s[2:3], -1, v2
; %bb.619:                              ;   in Loop: Header=BB19_560 Depth=2
	s_or_b64 exec, exec, s[16:17]
	v_add_u32_e32 v2, 0xffffff81, v22
	v_cndmask_b32_e32 v2, v2, v50, vcc
	v_lshrrev_b32_e32 v11, 23, v1
	v_add3_u32 v23, v23, v2, v11
	v_add_u32_e32 v21, 6, v23
	v_and_b32_e32 v2, 0xfffff, v20
	v_add_u32_e32 v11, v2, v1
	v_cmp_ne_u32_e32 vcc, 0, v21
                                        ; implicit-def: $vgpr1_vgpr2
                                        ; implicit-def: $vgpr22
	s_and_saveexec_b64 s[2:3], vcc
	s_xor_b64 s[2:3], exec, s[2:3]
; %bb.620:                              ;   in Loop: Header=BB19_560 Depth=2
	v_cmp_lt_u64_e32 vcc, s[50:51], v[11:12]
	v_add_u32_e32 v1, 7, v23
	v_cndmask_b32_e32 v22, v21, v1, vcc
	v_cndmask_b32_e64 v1, 0, 1, vcc
	v_lshrrev_b64 v[1:2], v1, v[11:12]
; %bb.621:                              ;   in Loop: Header=BB19_560 Depth=2
	s_andn2_saveexec_b64 s[2:3], s[2:3]
; %bb.622:                              ;   in Loop: Header=BB19_560 Depth=2
	v_mov_b32_e32 v1, v11
	v_bfe_u32 v22, v11, 23, 1
	v_mov_b32_e32 v2, v12
; %bb.623:                              ;   in Loop: Header=BB19_560 Depth=2
	s_or_b64 exec, exec, s[2:3]
	v_lshrrev_b64 v[1:2], 20, v[1:2]
	v_cmp_gt_i32_e32 vcc, 16, v22
	v_cndmask_b32_e32 v21, 0, v2, vcc
	v_cndmask_b32_e32 v20, 7, v1, vcc
	v_cmp_ne_u64_e32 vcc, 0, v[20:21]
	v_cmp_ne_u32_e64 s[2:3], 0, v22
	s_or_b64 s[2:3], s[2:3], vcc
	v_mov_b32_e32 v1, v19
	v_mov_b32_e32 v2, v20
	s_and_saveexec_b64 s[16:17], s[2:3]
	s_xor_b64 s[2:3], exec, s[16:17]
; %bb.624:                              ;   in Loop: Header=BB19_560 Depth=2
	v_min_i32_e32 v1, 15, v22
	v_lshl_or_b32 v1, v1, 3, v19
	v_and_or_b32 v1, v20, 7, v1
; %bb.625:                              ;   in Loop: Header=BB19_560 Depth=2
	s_andn2_saveexec_b64 s[2:3], s[2:3]
	s_or_b64 exec, exec, s[2:3]
.LBB19_626:                             ;   in Loop: Header=BB19_560 Depth=2
	s_or_b64 exec, exec, s[14:15]
                                        ; implicit-def: $vgpr19
.LBB19_627:                             ;   in Loop: Header=BB19_560 Depth=2
	s_andn2_saveexec_b64 s[2:3], s[12:13]
; %bb.628:                              ;   in Loop: Header=BB19_560 Depth=2
	v_or_b32_e32 v1, 0x7e, v19
; %bb.629:                              ;   in Loop: Header=BB19_560 Depth=2
	s_or_b64 exec, exec, s[2:3]
                                        ; implicit-def: $vgpr20
.LBB19_630:                             ;   in Loop: Header=BB19_560 Depth=2
	s_andn2_saveexec_b64 s[2:3], s[10:11]
; %bb.631:                              ;   in Loop: Header=BB19_560 Depth=2
	v_or_b32_sdwa v1, v20, s91 dst_sel:DWORD dst_unused:UNUSED_PAD src0_sel:BYTE_3 src1_sel:DWORD
; %bb.632:                              ;   in Loop: Header=BB19_560 Depth=2
	s_or_b64 exec, exec, s[2:3]
	v_lshlrev_b32_e32 v2, 16, v3
	v_div_scale_f32 v11, s[2:3], s33, s33, v2
	v_div_scale_f32 v19, vcc, v2, s33, v2
	v_rcp_f32_e32 v20, v11
	v_fma_f32 v21, -v11, v20, 1.0
	v_fmac_f32_e32 v20, v21, v20
	v_mul_f32_e32 v21, v19, v20
	v_fma_f32 v22, -v11, v21, v19
	v_fmac_f32_e32 v21, v22, v20
	v_fma_f32 v11, -v11, v21, v19
	v_div_fmas_f32 v11, v11, v20, v21
                                        ; implicit-def: $vgpr19_vgpr20
	v_div_fixup_f32 v21, v11, s33, v2
	v_and_b32_e32 v11, 0x7f800000, v21
	v_cmp_ne_u64_e32 vcc, s[46:47], v[11:12]
	s_and_saveexec_b64 s[2:3], vcc
	s_xor_b64 s[10:11], exec, s[2:3]
	s_cbranch_execz .LBB19_648
; %bb.633:                              ;   in Loop: Header=BB19_560 Depth=2
	v_and_b32_e32 v11, 0x7fffffff, v21
	v_cmp_gt_u64_e32 vcc, s[48:49], v[11:12]
	v_and_b32_sdwa v2, v21, s87 dst_sel:DWORD dst_unused:UNUSED_PAD src0_sel:BYTE_3 src1_sel:DWORD
                                        ; implicit-def: $vgpr19_vgpr20
	s_and_saveexec_b64 s[2:3], vcc
	s_xor_b64 s[12:13], exec, s[2:3]
	s_cbranch_execz .LBB19_645
; %bb.634:                              ;   in Loop: Header=BB19_560 Depth=2
	v_mov_b32_e32 v19, 0
	v_cmp_ne_u32_e32 vcc, 0, v21
	v_mov_b32_e32 v20, 0
	s_and_saveexec_b64 s[14:15], vcc
	s_cbranch_execz .LBB19_644
; %bb.635:                              ;   in Loop: Header=BB19_560 Depth=2
	v_bfe_u32 v22, v21, 23, 8
	v_sub_u32_e32 v19, 0x79, v22
	v_cmp_gt_u32_e32 vcc, s88, v22
	v_cndmask_b32_e32 v19, 0, v19, vcc
	v_cmp_eq_u32_e32 vcc, 0, v22
	v_cndmask_b32_e32 v23, v19, v49, vcc
	v_and_b32_e32 v11, 0x7fffff, v21
	v_add_u32_e32 v19, 20, v23
	v_or_b32_e32 v21, 0x800000, v11
	v_lshlrev_b64 v[19:20], v19, -1
	v_cndmask_b32_e32 v11, v21, v11, vcc
	v_bfi_b32 v26, v19, 0, v11
	v_add_u32_e32 v19, 19, v23
	v_bfi_b32 v27, v20, 0, 0
	v_lshlrev_b64 v[28:29], v19, 1
	v_lshrrev_b64 v[19:20], v23, v[11:12]
	v_cmp_eq_u64_e64 s[2:3], v[26:27], v[28:29]
	v_mov_b32_e32 v21, v20
	v_mov_b32_e32 v20, v19
	s_and_saveexec_b64 s[16:17], s[2:3]
; %bb.636:                              ;   in Loop: Header=BB19_560 Depth=2
	v_bfe_u32 v11, v19, 20, 1
	v_add_co_u32_e64 v11, s[2:3], v19, v11
	v_add_co_u32_e64 v20, s[2:3], -1, v11
; %bb.637:                              ;   in Loop: Header=BB19_560 Depth=2
	s_or_b64 exec, exec, s[16:17]
	v_add_u32_e32 v11, 0xffffff81, v22
	v_cndmask_b32_e32 v11, v11, v50, vcc
	v_lshrrev_b32_e32 v21, 23, v19
	v_add3_u32 v22, v23, v11, v21
	v_add_u32_e32 v21, 6, v22
	v_and_b32_e32 v11, 0xfffff, v20
	v_add_u32_e32 v11, v11, v19
	v_cmp_ne_u32_e32 vcc, 0, v21
                                        ; implicit-def: $vgpr19_vgpr20
                                        ; implicit-def: $vgpr23
	s_and_saveexec_b64 s[2:3], vcc
	s_xor_b64 s[2:3], exec, s[2:3]
; %bb.638:                              ;   in Loop: Header=BB19_560 Depth=2
	v_cmp_lt_u64_e32 vcc, s[50:51], v[11:12]
	v_add_u32_e32 v19, 7, v22
	v_cndmask_b32_e32 v23, v21, v19, vcc
	v_cndmask_b32_e64 v19, 0, 1, vcc
	v_lshrrev_b64 v[19:20], v19, v[11:12]
; %bb.639:                              ;   in Loop: Header=BB19_560 Depth=2
	s_andn2_saveexec_b64 s[2:3], s[2:3]
; %bb.640:                              ;   in Loop: Header=BB19_560 Depth=2
	v_mov_b32_e32 v20, v12
	v_bfe_u32 v23, v11, 23, 1
	v_mov_b32_e32 v19, v11
; %bb.641:                              ;   in Loop: Header=BB19_560 Depth=2
	s_or_b64 exec, exec, s[2:3]
	v_lshrrev_b64 v[19:20], 20, v[19:20]
	v_cmp_gt_i32_e32 vcc, 16, v23
	v_cndmask_b32_e32 v22, 0, v20, vcc
	v_cndmask_b32_e32 v21, 7, v19, vcc
	v_cmp_ne_u64_e32 vcc, 0, v[21:22]
	v_cmp_ne_u32_e64 s[2:3], 0, v23
	v_mov_b32_e32 v20, v3
	s_or_b64 s[2:3], s[2:3], vcc
	v_mov_b32_e32 v19, v2
	s_and_saveexec_b64 s[16:17], s[2:3]
	s_xor_b64 s[2:3], exec, s[16:17]
; %bb.642:                              ;   in Loop: Header=BB19_560 Depth=2
	v_min_i32_e32 v11, 15, v23
	v_lshl_or_b32 v2, v11, 3, v2
	v_and_or_b32 v19, v21, 7, v2
; %bb.643:                              ;   in Loop: Header=BB19_560 Depth=2
	s_andn2_saveexec_b64 s[2:3], s[2:3]
	s_or_b64 exec, exec, s[2:3]
.LBB19_644:                             ;   in Loop: Header=BB19_560 Depth=2
	s_or_b64 exec, exec, s[14:15]
                                        ; implicit-def: $vgpr2
.LBB19_645:                             ;   in Loop: Header=BB19_560 Depth=2
	s_andn2_saveexec_b64 s[2:3], s[12:13]
; %bb.646:                              ;   in Loop: Header=BB19_560 Depth=2
	v_or_b32_e32 v19, 0x7e, v2
; %bb.647:                              ;   in Loop: Header=BB19_560 Depth=2
	s_or_b64 exec, exec, s[2:3]
                                        ; implicit-def: $vgpr21
.LBB19_648:                             ;   in Loop: Header=BB19_560 Depth=2
	s_andn2_saveexec_b64 s[2:3], s[10:11]
; %bb.649:                              ;   in Loop: Header=BB19_560 Depth=2
	v_or_b32_sdwa v19, v21, s91 dst_sel:DWORD dst_unused:UNUSED_PAD src0_sel:BYTE_3 src1_sel:DWORD
; %bb.650:                              ;   in Loop: Header=BB19_560 Depth=2
	s_or_b64 exec, exec, s[2:3]
	v_and_b32_e32 v2, 0xffff0000, v3
	v_div_scale_f32 v3, s[2:3], s33, s33, v2
	v_div_scale_f32 v11, vcc, v2, s33, v2
	v_rcp_f32_e32 v20, v3
	v_fma_f32 v21, -v3, v20, 1.0
	v_fmac_f32_e32 v20, v21, v20
	v_mul_f32_e32 v21, v11, v20
	v_fma_f32 v22, -v3, v21, v11
	v_fmac_f32_e32 v21, v22, v20
	v_fma_f32 v3, -v3, v21, v11
	v_div_fmas_f32 v3, v3, v20, v21
	v_div_fixup_f32 v21, v3, s33, v2
	v_and_b32_e32 v11, 0x7f800000, v21
	v_cmp_ne_u64_e32 vcc, s[46:47], v[11:12]
                                        ; implicit-def: $vgpr2_vgpr3
	s_and_saveexec_b64 s[2:3], vcc
	s_xor_b64 s[10:11], exec, s[2:3]
	s_cbranch_execz .LBB19_666
; %bb.651:                              ;   in Loop: Header=BB19_560 Depth=2
	v_and_b32_e32 v11, 0x7fffffff, v21
	v_cmp_gt_u64_e32 vcc, s[48:49], v[11:12]
	v_and_b32_sdwa v20, v21, s87 dst_sel:DWORD dst_unused:UNUSED_PAD src0_sel:BYTE_3 src1_sel:DWORD
                                        ; implicit-def: $vgpr2_vgpr3
	s_and_saveexec_b64 s[2:3], vcc
	s_xor_b64 s[12:13], exec, s[2:3]
	s_cbranch_execz .LBB19_663
; %bb.652:                              ;   in Loop: Header=BB19_560 Depth=2
	v_mov_b32_e32 v2, 0
	v_cmp_ne_u32_e32 vcc, 0, v21
	v_mov_b32_e32 v3, 0
	s_and_saveexec_b64 s[14:15], vcc
	s_cbranch_execz .LBB19_662
; %bb.653:                              ;   in Loop: Header=BB19_560 Depth=2
	v_bfe_u32 v23, v21, 23, 8
	v_sub_u32_e32 v2, 0x79, v23
	v_cmp_gt_u32_e32 vcc, s88, v23
	v_cndmask_b32_e32 v2, 0, v2, vcc
	v_cmp_eq_u32_e32 vcc, 0, v23
	v_cndmask_b32_e32 v24, v2, v49, vcc
	v_and_b32_e32 v11, 0x7fffff, v21
	v_add_u32_e32 v2, 20, v24
	v_or_b32_e32 v21, 0x800000, v11
	v_lshlrev_b64 v[2:3], v2, -1
	v_cndmask_b32_e32 v11, v21, v11, vcc
	v_bfi_b32 v21, v2, 0, v11
	v_add_u32_e32 v2, 19, v24
	v_bfi_b32 v22, v3, 0, 0
	v_lshlrev_b64 v[26:27], v2, 1
	v_lshrrev_b64 v[2:3], v24, v[11:12]
	v_cmp_eq_u64_e64 s[2:3], v[21:22], v[26:27]
	v_mov_b32_e32 v22, v3
	v_mov_b32_e32 v21, v2
	s_and_saveexec_b64 s[16:17], s[2:3]
; %bb.654:                              ;   in Loop: Header=BB19_560 Depth=2
	v_bfe_u32 v3, v2, 20, 1
	v_add_co_u32_e64 v3, s[2:3], v2, v3
	v_add_co_u32_e64 v21, s[2:3], -1, v3
; %bb.655:                              ;   in Loop: Header=BB19_560 Depth=2
	s_or_b64 exec, exec, s[16:17]
	v_add_u32_e32 v3, 0xffffff81, v23
	v_cndmask_b32_e32 v3, v3, v50, vcc
	v_lshrrev_b32_e32 v11, 23, v2
	v_add3_u32 v24, v24, v3, v11
	v_add_u32_e32 v22, 6, v24
	v_and_b32_e32 v3, 0xfffff, v21
	v_add_u32_e32 v11, v3, v2
	v_cmp_ne_u32_e32 vcc, 0, v22
                                        ; implicit-def: $vgpr2_vgpr3
                                        ; implicit-def: $vgpr23
	s_and_saveexec_b64 s[2:3], vcc
	s_xor_b64 s[2:3], exec, s[2:3]
; %bb.656:                              ;   in Loop: Header=BB19_560 Depth=2
	v_cmp_lt_u64_e32 vcc, s[50:51], v[11:12]
	v_add_u32_e32 v2, 7, v24
	v_cndmask_b32_e32 v23, v22, v2, vcc
	v_cndmask_b32_e64 v2, 0, 1, vcc
	v_lshrrev_b64 v[2:3], v2, v[11:12]
; %bb.657:                              ;   in Loop: Header=BB19_560 Depth=2
	s_andn2_saveexec_b64 s[2:3], s[2:3]
; %bb.658:                              ;   in Loop: Header=BB19_560 Depth=2
	v_mov_b32_e32 v2, v11
	v_bfe_u32 v23, v11, 23, 1
	v_mov_b32_e32 v3, v12
; %bb.659:                              ;   in Loop: Header=BB19_560 Depth=2
	s_or_b64 exec, exec, s[2:3]
	v_lshrrev_b64 v[2:3], 20, v[2:3]
	v_cmp_gt_i32_e32 vcc, 16, v23
	v_cndmask_b32_e32 v22, 0, v3, vcc
	v_cndmask_b32_e32 v21, 7, v2, vcc
	v_cmp_ne_u64_e32 vcc, 0, v[21:22]
	v_cmp_ne_u32_e64 s[2:3], 0, v23
	s_or_b64 s[2:3], s[2:3], vcc
	v_mov_b32_e32 v2, v20
	v_mov_b32_e32 v3, v21
	s_and_saveexec_b64 s[16:17], s[2:3]
	s_xor_b64 s[2:3], exec, s[16:17]
; %bb.660:                              ;   in Loop: Header=BB19_560 Depth=2
	v_min_i32_e32 v2, 15, v23
	v_lshl_or_b32 v2, v2, 3, v20
	v_and_or_b32 v2, v21, 7, v2
; %bb.661:                              ;   in Loop: Header=BB19_560 Depth=2
	s_andn2_saveexec_b64 s[2:3], s[2:3]
	s_or_b64 exec, exec, s[2:3]
.LBB19_662:                             ;   in Loop: Header=BB19_560 Depth=2
	s_or_b64 exec, exec, s[14:15]
                                        ; implicit-def: $vgpr20
.LBB19_663:                             ;   in Loop: Header=BB19_560 Depth=2
	s_andn2_saveexec_b64 s[2:3], s[12:13]
; %bb.664:                              ;   in Loop: Header=BB19_560 Depth=2
	v_or_b32_e32 v2, 0x7e, v20
; %bb.665:                              ;   in Loop: Header=BB19_560 Depth=2
	s_or_b64 exec, exec, s[2:3]
                                        ; implicit-def: $vgpr21
.LBB19_666:                             ;   in Loop: Header=BB19_560 Depth=2
	s_andn2_saveexec_b64 s[2:3], s[10:11]
; %bb.667:                              ;   in Loop: Header=BB19_560 Depth=2
	v_or_b32_sdwa v2, v21, s91 dst_sel:DWORD dst_unused:UNUSED_PAD src0_sel:BYTE_3 src1_sel:DWORD
; %bb.668:                              ;   in Loop: Header=BB19_560 Depth=2
	s_or_b64 exec, exec, s[2:3]
	v_lshlrev_b32_e32 v3, 16, v4
	v_div_scale_f32 v11, s[2:3], s33, s33, v3
	v_div_scale_f32 v20, vcc, v3, s33, v3
	v_rcp_f32_e32 v21, v11
	v_fma_f32 v22, -v11, v21, 1.0
	v_fmac_f32_e32 v21, v22, v21
	v_mul_f32_e32 v22, v20, v21
	v_fma_f32 v23, -v11, v22, v20
	v_fmac_f32_e32 v22, v23, v21
	v_fma_f32 v11, -v11, v22, v20
	v_div_fmas_f32 v11, v11, v21, v22
                                        ; implicit-def: $vgpr20_vgpr21
	v_div_fixup_f32 v22, v11, s33, v3
	v_and_b32_e32 v11, 0x7f800000, v22
	v_cmp_ne_u64_e32 vcc, s[46:47], v[11:12]
	s_and_saveexec_b64 s[2:3], vcc
	s_xor_b64 s[10:11], exec, s[2:3]
	s_cbranch_execz .LBB19_684
; %bb.669:                              ;   in Loop: Header=BB19_560 Depth=2
	v_and_b32_e32 v11, 0x7fffffff, v22
	v_cmp_gt_u64_e32 vcc, s[48:49], v[11:12]
	v_and_b32_sdwa v3, v22, s87 dst_sel:DWORD dst_unused:UNUSED_PAD src0_sel:BYTE_3 src1_sel:DWORD
                                        ; implicit-def: $vgpr20_vgpr21
	s_and_saveexec_b64 s[2:3], vcc
	s_xor_b64 s[12:13], exec, s[2:3]
	s_cbranch_execz .LBB19_681
; %bb.670:                              ;   in Loop: Header=BB19_560 Depth=2
	v_mov_b32_e32 v20, 0
	v_cmp_ne_u32_e32 vcc, 0, v22
	v_mov_b32_e32 v21, 0
	s_and_saveexec_b64 s[14:15], vcc
	s_cbranch_execz .LBB19_680
; %bb.671:                              ;   in Loop: Header=BB19_560 Depth=2
	v_bfe_u32 v23, v22, 23, 8
	v_sub_u32_e32 v20, 0x79, v23
	v_cmp_gt_u32_e32 vcc, s88, v23
	v_cndmask_b32_e32 v20, 0, v20, vcc
	v_cmp_eq_u32_e32 vcc, 0, v23
	v_cndmask_b32_e32 v24, v20, v49, vcc
	v_and_b32_e32 v11, 0x7fffff, v22
	v_add_u32_e32 v20, 20, v24
	v_or_b32_e32 v22, 0x800000, v11
	v_lshlrev_b64 v[20:21], v20, -1
	v_cndmask_b32_e32 v11, v22, v11, vcc
	v_bfi_b32 v26, v20, 0, v11
	v_add_u32_e32 v20, 19, v24
	v_bfi_b32 v27, v21, 0, 0
	v_lshlrev_b64 v[28:29], v20, 1
	v_lshrrev_b64 v[20:21], v24, v[11:12]
	v_cmp_eq_u64_e64 s[2:3], v[26:27], v[28:29]
	v_mov_b32_e32 v22, v21
	v_mov_b32_e32 v21, v20
	s_and_saveexec_b64 s[16:17], s[2:3]
; %bb.672:                              ;   in Loop: Header=BB19_560 Depth=2
	v_bfe_u32 v11, v20, 20, 1
	v_add_co_u32_e64 v11, s[2:3], v20, v11
	v_add_co_u32_e64 v21, s[2:3], -1, v11
; %bb.673:                              ;   in Loop: Header=BB19_560 Depth=2
	s_or_b64 exec, exec, s[16:17]
	v_add_u32_e32 v11, 0xffffff81, v23
	v_cndmask_b32_e32 v11, v11, v50, vcc
	v_lshrrev_b32_e32 v22, 23, v20
	v_add3_u32 v23, v24, v11, v22
	v_add_u32_e32 v22, 6, v23
	v_and_b32_e32 v11, 0xfffff, v21
	v_add_u32_e32 v11, v11, v20
	v_cmp_ne_u32_e32 vcc, 0, v22
                                        ; implicit-def: $vgpr20_vgpr21
                                        ; implicit-def: $vgpr24
	s_and_saveexec_b64 s[2:3], vcc
	s_xor_b64 s[2:3], exec, s[2:3]
; %bb.674:                              ;   in Loop: Header=BB19_560 Depth=2
	v_cmp_lt_u64_e32 vcc, s[50:51], v[11:12]
	v_add_u32_e32 v20, 7, v23
	v_cndmask_b32_e32 v24, v22, v20, vcc
	v_cndmask_b32_e64 v20, 0, 1, vcc
	v_lshrrev_b64 v[20:21], v20, v[11:12]
; %bb.675:                              ;   in Loop: Header=BB19_560 Depth=2
	s_andn2_saveexec_b64 s[2:3], s[2:3]
; %bb.676:                              ;   in Loop: Header=BB19_560 Depth=2
	v_mov_b32_e32 v21, v12
	v_bfe_u32 v24, v11, 23, 1
	v_mov_b32_e32 v20, v11
; %bb.677:                              ;   in Loop: Header=BB19_560 Depth=2
	s_or_b64 exec, exec, s[2:3]
	v_lshrrev_b64 v[20:21], 20, v[20:21]
	v_cmp_gt_i32_e32 vcc, 16, v24
	v_cndmask_b32_e32 v23, 0, v21, vcc
	v_cndmask_b32_e32 v22, 7, v20, vcc
	v_cmp_ne_u64_e32 vcc, 0, v[22:23]
	v_cmp_ne_u32_e64 s[2:3], 0, v24
	v_mov_b32_e32 v21, v4
	s_or_b64 s[2:3], s[2:3], vcc
	v_mov_b32_e32 v20, v3
	s_and_saveexec_b64 s[16:17], s[2:3]
	s_xor_b64 s[2:3], exec, s[16:17]
; %bb.678:                              ;   in Loop: Header=BB19_560 Depth=2
	v_min_i32_e32 v11, 15, v24
	v_lshl_or_b32 v3, v11, 3, v3
	v_and_or_b32 v20, v22, 7, v3
; %bb.679:                              ;   in Loop: Header=BB19_560 Depth=2
	s_andn2_saveexec_b64 s[2:3], s[2:3]
	s_or_b64 exec, exec, s[2:3]
.LBB19_680:                             ;   in Loop: Header=BB19_560 Depth=2
	s_or_b64 exec, exec, s[14:15]
                                        ; implicit-def: $vgpr3
.LBB19_681:                             ;   in Loop: Header=BB19_560 Depth=2
	s_andn2_saveexec_b64 s[2:3], s[12:13]
; %bb.682:                              ;   in Loop: Header=BB19_560 Depth=2
	v_or_b32_e32 v20, 0x7e, v3
; %bb.683:                              ;   in Loop: Header=BB19_560 Depth=2
	s_or_b64 exec, exec, s[2:3]
                                        ; implicit-def: $vgpr22
.LBB19_684:                             ;   in Loop: Header=BB19_560 Depth=2
	s_andn2_saveexec_b64 s[2:3], s[10:11]
; %bb.685:                              ;   in Loop: Header=BB19_560 Depth=2
	v_or_b32_sdwa v20, v22, s91 dst_sel:DWORD dst_unused:UNUSED_PAD src0_sel:BYTE_3 src1_sel:DWORD
; %bb.686:                              ;   in Loop: Header=BB19_560 Depth=2
	s_or_b64 exec, exec, s[2:3]
	v_and_b32_e32 v3, 0xffff0000, v4
	v_div_scale_f32 v4, s[2:3], s33, s33, v3
	v_div_scale_f32 v11, vcc, v3, s33, v3
	v_rcp_f32_e32 v21, v4
	v_fma_f32 v22, -v4, v21, 1.0
	v_fmac_f32_e32 v21, v22, v21
	v_mul_f32_e32 v22, v11, v21
	v_fma_f32 v23, -v4, v22, v11
	v_fmac_f32_e32 v22, v23, v21
	v_fma_f32 v4, -v4, v22, v11
	v_div_fmas_f32 v4, v4, v21, v22
                                        ; implicit-def: $vgpr21_vgpr22
	v_div_fixup_f32 v4, v4, s33, v3
	v_and_b32_e32 v11, 0x7f800000, v4
	v_cmp_ne_u64_e32 vcc, s[46:47], v[11:12]
	s_and_saveexec_b64 s[2:3], vcc
	s_xor_b64 s[10:11], exec, s[2:3]
	s_cbranch_execz .LBB19_702
; %bb.687:                              ;   in Loop: Header=BB19_560 Depth=2
	v_and_b32_e32 v11, 0x7fffffff, v4
	v_cmp_gt_u64_e32 vcc, s[48:49], v[11:12]
	v_and_b32_sdwa v3, v4, s87 dst_sel:DWORD dst_unused:UNUSED_PAD src0_sel:BYTE_3 src1_sel:DWORD
                                        ; implicit-def: $vgpr21_vgpr22
	s_and_saveexec_b64 s[2:3], vcc
	s_xor_b64 s[12:13], exec, s[2:3]
	s_cbranch_execz .LBB19_699
; %bb.688:                              ;   in Loop: Header=BB19_560 Depth=2
	v_mov_b32_e32 v21, 0
	v_cmp_ne_u32_e32 vcc, 0, v4
	v_mov_b32_e32 v22, 0
	s_and_saveexec_b64 s[14:15], vcc
	s_cbranch_execz .LBB19_698
; %bb.689:                              ;   in Loop: Header=BB19_560 Depth=2
	v_and_b32_e32 v11, 0x7fffff, v4
	v_bfe_u32 v4, v4, 23, 8
	v_sub_u32_e32 v21, 0x79, v4
	v_cmp_gt_u32_e32 vcc, s88, v4
	v_cndmask_b32_e32 v21, 0, v21, vcc
	v_cmp_eq_u32_e32 vcc, 0, v4
	v_cndmask_b32_e32 v24, v21, v49, vcc
	v_add_u32_e32 v21, 20, v24
	v_or_b32_e32 v23, 0x800000, v11
	v_lshlrev_b64 v[21:22], v21, -1
	v_cndmask_b32_e32 v11, v23, v11, vcc
	v_bfi_b32 v26, v21, 0, v11
	v_add_u32_e32 v21, 19, v24
	v_bfi_b32 v27, v22, 0, 0
	v_lshlrev_b64 v[28:29], v21, 1
	v_lshrrev_b64 v[21:22], v24, v[11:12]
	v_cmp_eq_u64_e64 s[2:3], v[26:27], v[28:29]
	v_mov_b32_e32 v23, v22
	v_mov_b32_e32 v22, v21
	s_and_saveexec_b64 s[16:17], s[2:3]
; %bb.690:                              ;   in Loop: Header=BB19_560 Depth=2
	v_bfe_u32 v11, v21, 20, 1
	v_add_co_u32_e64 v11, s[2:3], v21, v11
	v_add_co_u32_e64 v22, s[2:3], -1, v11
; %bb.691:                              ;   in Loop: Header=BB19_560 Depth=2
	s_or_b64 exec, exec, s[16:17]
	v_add_u32_e32 v4, 0xffffff81, v4
	v_cndmask_b32_e32 v4, v4, v50, vcc
	v_lshrrev_b32_e32 v11, 23, v21
	v_add3_u32 v24, v24, v4, v11
	v_add_u32_e32 v23, 6, v24
	v_and_b32_e32 v4, 0xfffff, v22
	v_add_u32_e32 v11, v4, v21
	v_cmp_ne_u32_e32 vcc, 0, v23
                                        ; implicit-def: $vgpr21_vgpr22
                                        ; implicit-def: $vgpr4
	s_and_saveexec_b64 s[2:3], vcc
	s_xor_b64 s[2:3], exec, s[2:3]
; %bb.692:                              ;   in Loop: Header=BB19_560 Depth=2
	v_cmp_lt_u64_e32 vcc, s[50:51], v[11:12]
	v_add_u32_e32 v4, 7, v24
	v_cndmask_b32_e64 v21, 0, 1, vcc
	v_lshrrev_b64 v[21:22], v21, v[11:12]
	v_cndmask_b32_e32 v4, v23, v4, vcc
; %bb.693:                              ;   in Loop: Header=BB19_560 Depth=2
	s_andn2_saveexec_b64 s[2:3], s[2:3]
; %bb.694:                              ;   in Loop: Header=BB19_560 Depth=2
	v_mov_b32_e32 v22, v12
	v_bfe_u32 v4, v11, 23, 1
	v_mov_b32_e32 v21, v11
; %bb.695:                              ;   in Loop: Header=BB19_560 Depth=2
	s_or_b64 exec, exec, s[2:3]
	v_lshrrev_b64 v[21:22], 20, v[21:22]
	v_cmp_gt_i32_e32 vcc, 16, v4
	v_cndmask_b32_e32 v24, 0, v22, vcc
	v_cndmask_b32_e32 v23, 7, v21, vcc
	v_cmp_ne_u64_e32 vcc, 0, v[23:24]
	v_cmp_ne_u32_e64 s[2:3], 0, v4
	v_mov_b32_e32 v22, v4
	s_or_b64 s[2:3], s[2:3], vcc
	v_mov_b32_e32 v21, v3
	s_and_saveexec_b64 s[16:17], s[2:3]
	s_xor_b64 s[2:3], exec, s[16:17]
; %bb.696:                              ;   in Loop: Header=BB19_560 Depth=2
	v_min_i32_e32 v4, 15, v4
	v_lshl_or_b32 v3, v4, 3, v3
	v_and_or_b32 v21, v23, 7, v3
; %bb.697:                              ;   in Loop: Header=BB19_560 Depth=2
	s_andn2_saveexec_b64 s[2:3], s[2:3]
	s_or_b64 exec, exec, s[2:3]
.LBB19_698:                             ;   in Loop: Header=BB19_560 Depth=2
	s_or_b64 exec, exec, s[14:15]
                                        ; implicit-def: $vgpr3
.LBB19_699:                             ;   in Loop: Header=BB19_560 Depth=2
	s_andn2_saveexec_b64 s[2:3], s[12:13]
; %bb.700:                              ;   in Loop: Header=BB19_560 Depth=2
	v_or_b32_e32 v21, 0x7e, v3
; %bb.701:                              ;   in Loop: Header=BB19_560 Depth=2
	s_or_b64 exec, exec, s[2:3]
                                        ; implicit-def: $vgpr4
.LBB19_702:                             ;   in Loop: Header=BB19_560 Depth=2
	s_andn2_saveexec_b64 s[2:3], s[10:11]
	s_cbranch_execz .LBB19_559
; %bb.703:                              ;   in Loop: Header=BB19_560 Depth=2
	v_or_b32_sdwa v21, v4, s91 dst_sel:DWORD dst_unused:UNUSED_PAD src0_sel:BYTE_3 src1_sel:DWORD
	s_branch .LBB19_559
.LBB19_704:
	v_readlane_b32 s0, v63, 1
	v_readlane_b32 s1, v63, 2
	s_or_b64 exec, exec, s[0:1]
	s_mov_b64 s[0:1], 0
.LBB19_705:
	s_andn2_b64 vcc, exec, s[0:1]
	s_cbranch_vccnz .LBB19_1404
; %bb.706:
	s_and_b32 s0, s72, 15
	s_mov_b32 s1, 0
	s_mul_i32 s48, s45, s44
	s_cmp_lg_u64 s[0:1], 0
	s_cselect_b64 s[0:1], -1, 0
	s_and_b32 s2, s48, 7
	s_cmp_eq_u32 s2, 0
	s_cselect_b64 s[22:23], -1, 0
	s_cmp_lg_u32 s2, 0
	s_cselect_b64 s[2:3], -1, 0
	s_or_b64 s[2:3], s[0:1], s[2:3]
	s_mov_b64 s[0:1], -1
	s_and_b64 vcc, exec, s[2:3]
	s_cbranch_vccz .LBB19_907
; %bb.707:
	s_sub_i32 s0, 0, s72
	s_bfe_u32 s0, s0, 0x30001
	s_min_i32 s36, s0, s48
	v_cmp_gt_i32_e32 vcc, s36, v0
	s_and_saveexec_b64 s[2:3], vcc
	s_cbranch_execz .LBB19_731
; %bb.708:
	v_mov_b32_e32 v2, 0
	s_add_u32 s0, s24, s42
	v_mov_b32_e32 v1, v2
	v_lshlrev_b32_e32 v3, 1, v0
	s_addc_u32 s1, s25, s43
	v_mov_b32_e32 v4, s1
	v_add_co_u32_e32 v3, vcc, s0, v3
	v_mov_b32_e32 v6, v1
	v_addc_co_u32_e32 v4, vcc, 0, v4, vcc
	s_lshl_b32 s20, s62, 1
	s_mov_b64 s[4:5], 0
	s_mov_b64 s[6:7], 0x7f800000
	s_movk_i32 s21, 0x80
	s_mov_b64 s[8:9], 0x43e00001
	s_movk_i32 s37, 0x7a
	;; [unrolled: 2-line block ×3, first 2 shown]
	v_mov_b32_e32 v10, 0x78
	v_mov_b32_e32 v11, 0xffffff82
	;; [unrolled: 1-line block ×3, first 2 shown]
	s_branch .LBB19_710
.LBB19_709:                             ;   in Loop: Header=BB19_710 Depth=1
	s_or_b64 exec, exec, s[0:1]
	v_mov_b32_e32 v8, s75
	v_add_co_u32_e32 v7, vcc, s74, v5
	v_addc_co_u32_e32 v8, vcc, v8, v6, vcc
	v_add_co_u32_e32 v5, vcc, s62, v5
	v_addc_co_u32_e32 v6, vcc, 0, v6, vcc
	v_cmp_le_i32_e32 vcc, s36, v5
	s_or_b64 s[4:5], vcc, s[4:5]
	v_add_co_u32_e32 v3, vcc, s20, v3
	v_addc_co_u32_e32 v4, vcc, 0, v4, vcc
	global_store_byte v[7:8], v1, off
	s_andn2_b64 exec, exec, s[4:5]
	s_cbranch_execz .LBB19_731
.LBB19_710:                             ; =>This Inner Loop Header: Depth=1
	global_load_ushort v1, v[3:4], off
	s_waitcnt vmcnt(0)
	v_lshlrev_b32_e32 v1, 16, v1
	v_div_scale_f32 v7, s[0:1], s71, s71, v1
	v_div_scale_f32 v8, vcc, v1, s71, v1
	v_rcp_f32_e32 v9, v7
	v_fma_f32 v12, -v7, v9, 1.0
	v_fmac_f32_e32 v9, v12, v9
	v_mul_f32_e32 v12, v8, v9
	v_fma_f32 v13, -v7, v12, v8
	v_fmac_f32_e32 v12, v13, v9
	v_fma_f32 v7, -v7, v12, v8
	v_div_fmas_f32 v7, v7, v9, v12
	v_div_fixup_f32 v7, v7, s71, v1
	v_and_b32_e32 v1, 0x7f800000, v7
	v_cmp_ne_u64_e32 vcc, s[6:7], v[1:2]
                                        ; implicit-def: $vgpr1
	s_and_saveexec_b64 s[0:1], vcc
	s_xor_b64 s[12:13], exec, s[0:1]
	s_cbranch_execz .LBB19_728
; %bb.711:                              ;   in Loop: Header=BB19_710 Depth=1
	v_and_b32_e32 v1, 0x7fffffff, v7
	v_cmp_gt_u64_e32 vcc, s[8:9], v[1:2]
	v_and_b32_sdwa v12, v7, s21 dst_sel:DWORD dst_unused:UNUSED_PAD src0_sel:BYTE_3 src1_sel:DWORD
                                        ; implicit-def: $vgpr1
	s_and_saveexec_b64 s[0:1], vcc
	s_xor_b64 s[14:15], exec, s[0:1]
	s_cbranch_execz .LBB19_725
; %bb.712:                              ;   in Loop: Header=BB19_710 Depth=1
	v_cmp_ne_u32_e32 vcc, 0, v7
	v_mov_b32_e32 v1, 0
	s_and_saveexec_b64 s[16:17], vcc
	s_cbranch_execz .LBB19_724
; %bb.713:                              ;   in Loop: Header=BB19_710 Depth=1
	v_bfe_u32 v13, v7, 23, 8
	v_and_b32_e32 v1, 0x7fffff, v7
	v_sub_u32_e32 v7, 0x79, v13
	v_cmp_gt_u32_e32 vcc, s37, v13
	v_cndmask_b32_e32 v7, 0, v7, vcc
	v_cmp_eq_u32_e32 vcc, 0, v13
	v_cndmask_b32_e32 v14, v7, v10, vcc
	v_add_u32_e32 v7, 20, v14
	v_or_b32_e32 v9, 0x800000, v1
	v_lshlrev_b64 v[7:8], v7, -1
	v_cndmask_b32_e32 v1, v9, v1, vcc
	v_bfi_b32 v15, v7, 0, v1
	v_add_u32_e32 v7, 19, v14
	v_bfi_b32 v16, v8, 0, 0
	v_lshlrev_b64 v[17:18], v7, 1
	v_lshrrev_b64 v[7:8], v14, v[1:2]
	v_cmp_eq_u64_e64 s[0:1], v[15:16], v[17:18]
	v_mov_b32_e32 v9, v8
	v_mov_b32_e32 v8, v7
	s_and_saveexec_b64 s[18:19], s[0:1]
; %bb.714:                              ;   in Loop: Header=BB19_710 Depth=1
	v_bfe_u32 v1, v7, 20, 1
	v_add_co_u32_e64 v1, s[0:1], v7, v1
	v_add_co_u32_e64 v8, s[0:1], -1, v1
; %bb.715:                              ;   in Loop: Header=BB19_710 Depth=1
	s_or_b64 exec, exec, s[18:19]
	v_add_u32_e32 v1, 0xffffff81, v13
	v_cndmask_b32_e32 v1, v1, v11, vcc
	v_lshrrev_b32_e32 v9, 23, v7
	v_add3_u32 v14, v14, v1, v9
	v_add_u32_e32 v13, 6, v14
	v_and_b32_e32 v1, 0xfffff, v8
	v_add_u32_e32 v1, v1, v7
	v_cmp_ne_u32_e32 vcc, 0, v13
                                        ; implicit-def: $vgpr7_vgpr8
                                        ; implicit-def: $vgpr9
	s_and_saveexec_b64 s[0:1], vcc
	s_xor_b64 s[0:1], exec, s[0:1]
; %bb.716:                              ;   in Loop: Header=BB19_710 Depth=1
	v_cmp_lt_u64_e32 vcc, s[10:11], v[1:2]
	v_add_u32_e32 v7, 7, v14
	v_cndmask_b32_e32 v9, v13, v7, vcc
	v_cndmask_b32_e64 v7, 0, 1, vcc
	v_lshrrev_b64 v[7:8], v7, v[1:2]
; %bb.717:                              ;   in Loop: Header=BB19_710 Depth=1
	s_andn2_saveexec_b64 s[0:1], s[0:1]
; %bb.718:                              ;   in Loop: Header=BB19_710 Depth=1
	v_mov_b32_e32 v8, v2
	v_bfe_u32 v9, v1, 23, 1
	v_mov_b32_e32 v7, v1
; %bb.719:                              ;   in Loop: Header=BB19_710 Depth=1
	s_or_b64 exec, exec, s[0:1]
	v_lshrrev_b64 v[7:8], 20, v[7:8]
	v_cmp_gt_i32_e32 vcc, 16, v9
	v_cndmask_b32_e32 v8, 0, v8, vcc
	v_cndmask_b32_e32 v7, 7, v7, vcc
	v_cmp_ne_u64_e32 vcc, 0, v[7:8]
	v_cmp_ne_u32_e64 s[0:1], 0, v9
	s_or_b64 s[0:1], s[0:1], vcc
                                        ; implicit-def: $vgpr1
	s_and_saveexec_b64 s[18:19], s[0:1]
	s_xor_b64 s[0:1], exec, s[18:19]
; %bb.720:                              ;   in Loop: Header=BB19_710 Depth=1
	v_min_i32_e32 v1, 15, v9
	v_lshl_or_b32 v1, v1, 3, v12
	v_and_or_b32 v1, v7, 7, v1
                                        ; implicit-def: $vgpr12
; %bb.721:                              ;   in Loop: Header=BB19_710 Depth=1
	s_andn2_saveexec_b64 s[0:1], s[0:1]
; %bb.722:                              ;   in Loop: Header=BB19_710 Depth=1
	v_mov_b32_e32 v1, v12
; %bb.723:                              ;   in Loop: Header=BB19_710 Depth=1
	s_or_b64 exec, exec, s[0:1]
.LBB19_724:                             ;   in Loop: Header=BB19_710 Depth=1
	s_or_b64 exec, exec, s[16:17]
                                        ; implicit-def: $vgpr12
.LBB19_725:                             ;   in Loop: Header=BB19_710 Depth=1
	s_andn2_saveexec_b64 s[0:1], s[14:15]
; %bb.726:                              ;   in Loop: Header=BB19_710 Depth=1
	v_or_b32_e32 v1, 0x7e, v12
; %bb.727:                              ;   in Loop: Header=BB19_710 Depth=1
	s_or_b64 exec, exec, s[0:1]
                                        ; implicit-def: $vgpr7
.LBB19_728:                             ;   in Loop: Header=BB19_710 Depth=1
	s_andn2_saveexec_b64 s[0:1], s[12:13]
	s_cbranch_execz .LBB19_709
; %bb.729:                              ;   in Loop: Header=BB19_710 Depth=1
	v_or_b32_sdwa v1, v7, s38 dst_sel:DWORD dst_unused:UNUSED_PAD src0_sel:BYTE_3 src1_sel:DWORD
	s_branch .LBB19_709
.LBB19_730:
                                        ; implicit-def: $sgpr10_sgpr11
	s_branch .LBB19_3
.LBB19_731:
	s_or_b64 exec, exec, s[2:3]
	s_sub_i32 s49, s48, s36
	s_ashr_i32 s0, s49, 31
	s_lshr_b32 s0, s0, 29
	s_add_i32 s0, s49, s0
	s_ashr_i32 s20, s0, 3
	s_ashr_i32 s37, s36, 31
	v_cmp_gt_i32_e32 vcc, s20, v0
	s_and_saveexec_b64 s[2:3], vcc
	s_cbranch_execz .LBB19_878
; %bb.732:
	s_add_u32 s0, s36, s64
	s_addc_u32 s1, s37, s63
	s_add_u32 s0, s0, s66
	s_addc_u32 s1, s1, s65
	s_add_u32 s0, s28, s0
	v_lshlrev_b32_e32 v1, 3, v0
	s_addc_u32 s1, s29, s1
	v_mov_b32_e32 v2, s1
	v_add_co_u32_e32 v7, vcc, s0, v1
	s_lshl_b32 s21, s62, 3
	s_lshl_b64 s[0:1], s[36:37], 1
	s_add_u32 s0, s24, s0
	s_addc_u32 s1, s25, s1
	s_add_u32 s0, s0, s42
	v_addc_co_u32_e32 v8, vcc, 0, v2, vcc
	v_lshlrev_b32_e32 v1, 4, v0
	s_addc_u32 s1, s1, s43
	v_mov_b32_e32 v2, s1
	v_add_co_u32_e32 v9, vcc, s0, v1
	v_mov_b32_e32 v6, 0
	v_addc_co_u32_e32 v10, vcc, 0, v2, vcc
	s_lshl_b32 s38, s62, 4
	s_mov_b64 s[4:5], 0
	s_mov_b64 s[6:7], 0x7f800000
	s_movk_i32 s39, 0x80
	s_mov_b64 s[8:9], 0x43e00001
	s_movk_i32 s40, 0x7a
	s_mov_b64 s[10:11], 0xffffff
	s_movk_i32 s41, 0x7f
	s_mov_b32 s44, 0xff00
	s_mov_b32 s45, 0x4020c0c
	v_mov_b32_e32 v19, 0x78
	v_mov_b32_e32 v20, 0xffffff82
	;; [unrolled: 1-line block ×3, first 2 shown]
	s_branch .LBB19_734
.LBB19_733:                             ;   in Loop: Header=BB19_734 Depth=1
	s_or_b64 exec, exec, s[0:1]
	v_lshlrev_b32_e32 v3, 24, v4
	v_lshlrev_b32_e32 v4, 16, v15
	v_and_b32_e32 v4, 0xff0000, v4
	v_lshlrev_b32_e32 v2, 8, v2
	v_or_b32_e32 v3, v3, v4
	v_and_b32_e32 v2, 0xff00, v2
	v_and_b32_e32 v4, 0xff, v14
	v_or3_b32 v2, v3, v2, v4
	v_lshlrev_b32_e32 v3, 16, v13
	v_lshlrev_b32_e32 v4, 8, v12
	v_perm_b32 v1, v1, v3, s45
	v_and_or_b32 v1, v4, s44, v1
	v_or_b32_sdwa v1, v1, v11 dst_sel:DWORD dst_unused:UNUSED_PAD src0_sel:DWORD src1_sel:BYTE_0
	global_store_dwordx2 v[7:8], v[1:2], off
	v_add_co_u32_e32 v7, vcc, s21, v7
	v_add_u32_e32 v21, s62, v21
	v_addc_co_u32_e32 v8, vcc, 0, v8, vcc
	v_cmp_le_i32_e32 vcc, s20, v21
	s_or_b64 s[4:5], vcc, s[4:5]
	v_add_co_u32_e32 v9, vcc, s38, v9
	v_addc_co_u32_e32 v10, vcc, 0, v10, vcc
	s_andn2_b64 exec, exec, s[4:5]
	s_cbranch_execz .LBB19_878
.LBB19_734:                             ; =>This Inner Loop Header: Depth=1
	global_load_dwordx4 v[1:4], v[9:10], off
	s_waitcnt vmcnt(0)
	v_lshlrev_b32_e32 v5, 16, v1
	v_div_scale_f32 v11, s[0:1], s71, s71, v5
	v_div_scale_f32 v12, vcc, v5, s71, v5
	v_rcp_f32_e32 v13, v11
	v_fma_f32 v14, -v11, v13, 1.0
	v_fmac_f32_e32 v13, v14, v13
	v_mul_f32_e32 v14, v12, v13
	v_fma_f32 v15, -v11, v14, v12
	v_fmac_f32_e32 v14, v15, v13
	v_fma_f32 v11, -v11, v14, v12
	v_div_fmas_f32 v11, v11, v13, v14
	v_div_fixup_f32 v14, v11, s71, v5
	v_and_b32_e32 v5, 0x7f800000, v14
	v_cmp_ne_u64_e32 vcc, s[6:7], v[5:6]
                                        ; implicit-def: $vgpr11_vgpr12
	s_and_saveexec_b64 s[0:1], vcc
	s_xor_b64 s[12:13], exec, s[0:1]
	s_cbranch_execz .LBB19_750
; %bb.735:                              ;   in Loop: Header=BB19_734 Depth=1
	v_and_b32_e32 v5, 0x7fffffff, v14
	v_cmp_gt_u64_e32 vcc, s[8:9], v[5:6]
	v_and_b32_sdwa v13, v14, s39 dst_sel:DWORD dst_unused:UNUSED_PAD src0_sel:BYTE_3 src1_sel:DWORD
                                        ; implicit-def: $vgpr11_vgpr12
	s_and_saveexec_b64 s[0:1], vcc
	s_xor_b64 s[14:15], exec, s[0:1]
	s_cbranch_execz .LBB19_747
; %bb.736:                              ;   in Loop: Header=BB19_734 Depth=1
	v_mov_b32_e32 v11, 0
	v_cmp_ne_u32_e32 vcc, 0, v14
	v_mov_b32_e32 v12, 0
	s_and_saveexec_b64 s[16:17], vcc
	s_cbranch_execz .LBB19_746
; %bb.737:                              ;   in Loop: Header=BB19_734 Depth=1
	v_bfe_u32 v16, v14, 23, 8
	v_sub_u32_e32 v11, 0x79, v16
	v_cmp_gt_u32_e32 vcc, s40, v16
	v_cndmask_b32_e32 v11, 0, v11, vcc
	v_cmp_eq_u32_e32 vcc, 0, v16
	v_cndmask_b32_e32 v17, v11, v19, vcc
	v_and_b32_e32 v5, 0x7fffff, v14
	v_add_u32_e32 v11, 20, v17
	v_or_b32_e32 v14, 0x800000, v5
	v_lshlrev_b64 v[11:12], v11, -1
	v_cndmask_b32_e32 v5, v14, v5, vcc
	v_bfi_b32 v14, v11, 0, v5
	v_add_u32_e32 v11, 19, v17
	v_bfi_b32 v15, v12, 0, 0
	v_lshlrev_b64 v[22:23], v11, 1
	v_lshrrev_b64 v[11:12], v17, v[5:6]
	v_cmp_eq_u64_e64 s[0:1], v[14:15], v[22:23]
	v_mov_b32_e32 v15, v12
	v_mov_b32_e32 v14, v11
	s_and_saveexec_b64 s[18:19], s[0:1]
; %bb.738:                              ;   in Loop: Header=BB19_734 Depth=1
	v_bfe_u32 v5, v11, 20, 1
	v_add_co_u32_e64 v5, s[0:1], v11, v5
	v_add_co_u32_e64 v14, s[0:1], -1, v5
; %bb.739:                              ;   in Loop: Header=BB19_734 Depth=1
	s_or_b64 exec, exec, s[18:19]
	v_add_u32_e32 v5, 0xffffff81, v16
	v_cndmask_b32_e32 v5, v5, v20, vcc
	v_lshrrev_b32_e32 v12, 23, v11
	v_add3_u32 v17, v17, v5, v12
	v_add_u32_e32 v15, 6, v17
	v_and_b32_e32 v5, 0xfffff, v14
	v_add_u32_e32 v5, v5, v11
	v_cmp_ne_u32_e32 vcc, 0, v15
                                        ; implicit-def: $vgpr11_vgpr12
                                        ; implicit-def: $vgpr16
	s_and_saveexec_b64 s[0:1], vcc
	s_xor_b64 s[0:1], exec, s[0:1]
; %bb.740:                              ;   in Loop: Header=BB19_734 Depth=1
	v_cmp_lt_u64_e32 vcc, s[10:11], v[5:6]
	v_add_u32_e32 v11, 7, v17
	v_cndmask_b32_e32 v16, v15, v11, vcc
	v_cndmask_b32_e64 v11, 0, 1, vcc
	v_lshrrev_b64 v[11:12], v11, v[5:6]
; %bb.741:                              ;   in Loop: Header=BB19_734 Depth=1
	s_andn2_saveexec_b64 s[0:1], s[0:1]
; %bb.742:                              ;   in Loop: Header=BB19_734 Depth=1
	v_mov_b32_e32 v12, v6
	v_bfe_u32 v16, v5, 23, 1
	v_mov_b32_e32 v11, v5
; %bb.743:                              ;   in Loop: Header=BB19_734 Depth=1
	s_or_b64 exec, exec, s[0:1]
	v_lshrrev_b64 v[11:12], 20, v[11:12]
	v_cmp_gt_i32_e32 vcc, 16, v16
	v_cndmask_b32_e32 v15, 0, v12, vcc
	v_cndmask_b32_e32 v14, 7, v11, vcc
	v_cmp_ne_u64_e32 vcc, 0, v[14:15]
	v_cmp_ne_u32_e64 s[0:1], 0, v16
	s_or_b64 s[0:1], s[0:1], vcc
	v_mov_b32_e32 v11, v13
	v_mov_b32_e32 v12, v14
	s_and_saveexec_b64 s[18:19], s[0:1]
	s_xor_b64 s[0:1], exec, s[18:19]
; %bb.744:                              ;   in Loop: Header=BB19_734 Depth=1
	v_min_i32_e32 v5, 15, v16
	v_lshl_or_b32 v5, v5, 3, v13
	v_and_or_b32 v11, v14, 7, v5
; %bb.745:                              ;   in Loop: Header=BB19_734 Depth=1
	s_andn2_saveexec_b64 s[0:1], s[0:1]
	s_or_b64 exec, exec, s[0:1]
.LBB19_746:                             ;   in Loop: Header=BB19_734 Depth=1
	s_or_b64 exec, exec, s[16:17]
                                        ; implicit-def: $vgpr13
.LBB19_747:                             ;   in Loop: Header=BB19_734 Depth=1
	s_andn2_saveexec_b64 s[0:1], s[14:15]
; %bb.748:                              ;   in Loop: Header=BB19_734 Depth=1
	v_or_b32_e32 v11, 0x7e, v13
; %bb.749:                              ;   in Loop: Header=BB19_734 Depth=1
	s_or_b64 exec, exec, s[0:1]
                                        ; implicit-def: $vgpr14
.LBB19_750:                             ;   in Loop: Header=BB19_734 Depth=1
	s_andn2_saveexec_b64 s[0:1], s[12:13]
; %bb.751:                              ;   in Loop: Header=BB19_734 Depth=1
	v_or_b32_sdwa v11, v14, s41 dst_sel:DWORD dst_unused:UNUSED_PAD src0_sel:BYTE_3 src1_sel:DWORD
; %bb.752:                              ;   in Loop: Header=BB19_734 Depth=1
	s_or_b64 exec, exec, s[0:1]
	v_and_b32_e32 v1, 0xffff0000, v1
	v_div_scale_f32 v5, s[0:1], s71, s71, v1
	v_div_scale_f32 v12, vcc, v1, s71, v1
	v_rcp_f32_e32 v13, v5
	v_fma_f32 v14, -v5, v13, 1.0
	v_fmac_f32_e32 v13, v14, v13
	v_mul_f32_e32 v14, v12, v13
	v_fma_f32 v15, -v5, v14, v12
	v_fmac_f32_e32 v14, v15, v13
	v_fma_f32 v5, -v5, v14, v12
	v_div_fmas_f32 v5, v5, v13, v14
                                        ; implicit-def: $vgpr12_vgpr13
	v_div_fixup_f32 v14, v5, s71, v1
	v_and_b32_e32 v5, 0x7f800000, v14
	v_cmp_ne_u64_e32 vcc, s[6:7], v[5:6]
	s_and_saveexec_b64 s[0:1], vcc
	s_xor_b64 s[12:13], exec, s[0:1]
	s_cbranch_execz .LBB19_768
; %bb.753:                              ;   in Loop: Header=BB19_734 Depth=1
	v_and_b32_e32 v5, 0x7fffffff, v14
	v_cmp_gt_u64_e32 vcc, s[8:9], v[5:6]
	v_and_b32_sdwa v1, v14, s39 dst_sel:DWORD dst_unused:UNUSED_PAD src0_sel:BYTE_3 src1_sel:DWORD
                                        ; implicit-def: $vgpr12_vgpr13
	s_and_saveexec_b64 s[0:1], vcc
	s_xor_b64 s[14:15], exec, s[0:1]
	s_cbranch_execz .LBB19_765
; %bb.754:                              ;   in Loop: Header=BB19_734 Depth=1
	v_mov_b32_e32 v12, 0
	v_cmp_ne_u32_e32 vcc, 0, v14
	v_mov_b32_e32 v13, 0
	s_and_saveexec_b64 s[16:17], vcc
	s_cbranch_execz .LBB19_764
; %bb.755:                              ;   in Loop: Header=BB19_734 Depth=1
	v_bfe_u32 v15, v14, 23, 8
	v_sub_u32_e32 v12, 0x79, v15
	v_cmp_gt_u32_e32 vcc, s40, v15
	v_cndmask_b32_e32 v12, 0, v12, vcc
	v_cmp_eq_u32_e32 vcc, 0, v15
	v_cndmask_b32_e32 v16, v12, v19, vcc
	v_and_b32_e32 v5, 0x7fffff, v14
	v_add_u32_e32 v12, 20, v16
	v_or_b32_e32 v14, 0x800000, v5
	v_lshlrev_b64 v[12:13], v12, -1
	v_cndmask_b32_e32 v5, v14, v5, vcc
	v_bfi_b32 v17, v12, 0, v5
	v_add_u32_e32 v12, 19, v16
	v_bfi_b32 v18, v13, 0, 0
	v_lshlrev_b64 v[22:23], v12, 1
	v_lshrrev_b64 v[12:13], v16, v[5:6]
	v_cmp_eq_u64_e64 s[0:1], v[17:18], v[22:23]
	v_mov_b32_e32 v14, v13
	v_mov_b32_e32 v13, v12
	s_and_saveexec_b64 s[18:19], s[0:1]
; %bb.756:                              ;   in Loop: Header=BB19_734 Depth=1
	v_bfe_u32 v5, v12, 20, 1
	v_add_co_u32_e64 v5, s[0:1], v12, v5
	v_add_co_u32_e64 v13, s[0:1], -1, v5
; %bb.757:                              ;   in Loop: Header=BB19_734 Depth=1
	s_or_b64 exec, exec, s[18:19]
	v_add_u32_e32 v5, 0xffffff81, v15
	v_cndmask_b32_e32 v5, v5, v20, vcc
	v_lshrrev_b32_e32 v14, 23, v12
	v_add3_u32 v15, v16, v5, v14
	v_add_u32_e32 v14, 6, v15
	v_and_b32_e32 v5, 0xfffff, v13
	v_add_u32_e32 v5, v5, v12
	v_cmp_ne_u32_e32 vcc, 0, v14
                                        ; implicit-def: $vgpr12_vgpr13
                                        ; implicit-def: $vgpr16
	s_and_saveexec_b64 s[0:1], vcc
	s_xor_b64 s[0:1], exec, s[0:1]
; %bb.758:                              ;   in Loop: Header=BB19_734 Depth=1
	v_cmp_lt_u64_e32 vcc, s[10:11], v[5:6]
	v_add_u32_e32 v12, 7, v15
	v_cndmask_b32_e32 v16, v14, v12, vcc
	v_cndmask_b32_e64 v12, 0, 1, vcc
	v_lshrrev_b64 v[12:13], v12, v[5:6]
; %bb.759:                              ;   in Loop: Header=BB19_734 Depth=1
	s_andn2_saveexec_b64 s[0:1], s[0:1]
; %bb.760:                              ;   in Loop: Header=BB19_734 Depth=1
	v_mov_b32_e32 v13, v6
	v_bfe_u32 v16, v5, 23, 1
	v_mov_b32_e32 v12, v5
; %bb.761:                              ;   in Loop: Header=BB19_734 Depth=1
	s_or_b64 exec, exec, s[0:1]
	v_lshrrev_b64 v[12:13], 20, v[12:13]
	v_cmp_gt_i32_e32 vcc, 16, v16
	v_cndmask_b32_e32 v15, 0, v13, vcc
	v_cndmask_b32_e32 v14, 7, v12, vcc
	v_cmp_ne_u64_e32 vcc, 0, v[14:15]
	v_cmp_ne_u32_e64 s[0:1], 0, v16
	v_mov_b32_e32 v13, v2
	s_or_b64 s[0:1], s[0:1], vcc
	v_mov_b32_e32 v12, v1
	s_and_saveexec_b64 s[18:19], s[0:1]
	s_xor_b64 s[0:1], exec, s[18:19]
; %bb.762:                              ;   in Loop: Header=BB19_734 Depth=1
	v_min_i32_e32 v5, 15, v16
	v_lshl_or_b32 v1, v5, 3, v1
	v_and_or_b32 v12, v14, 7, v1
; %bb.763:                              ;   in Loop: Header=BB19_734 Depth=1
	s_andn2_saveexec_b64 s[0:1], s[0:1]
	s_or_b64 exec, exec, s[0:1]
.LBB19_764:                             ;   in Loop: Header=BB19_734 Depth=1
	s_or_b64 exec, exec, s[16:17]
                                        ; implicit-def: $vgpr1
.LBB19_765:                             ;   in Loop: Header=BB19_734 Depth=1
	s_andn2_saveexec_b64 s[0:1], s[14:15]
; %bb.766:                              ;   in Loop: Header=BB19_734 Depth=1
	v_or_b32_e32 v12, 0x7e, v1
; %bb.767:                              ;   in Loop: Header=BB19_734 Depth=1
	s_or_b64 exec, exec, s[0:1]
                                        ; implicit-def: $vgpr14
.LBB19_768:                             ;   in Loop: Header=BB19_734 Depth=1
	s_andn2_saveexec_b64 s[0:1], s[12:13]
; %bb.769:                              ;   in Loop: Header=BB19_734 Depth=1
	v_or_b32_sdwa v12, v14, s41 dst_sel:DWORD dst_unused:UNUSED_PAD src0_sel:BYTE_3 src1_sel:DWORD
; %bb.770:                              ;   in Loop: Header=BB19_734 Depth=1
	s_or_b64 exec, exec, s[0:1]
	v_lshlrev_b32_e32 v1, 16, v2
	v_div_scale_f32 v5, s[0:1], s71, s71, v1
	v_div_scale_f32 v13, vcc, v1, s71, v1
	v_rcp_f32_e32 v14, v5
	v_fma_f32 v15, -v5, v14, 1.0
	v_fmac_f32_e32 v14, v15, v14
	v_mul_f32_e32 v15, v13, v14
	v_fma_f32 v16, -v5, v15, v13
	v_fmac_f32_e32 v15, v16, v14
	v_fma_f32 v5, -v5, v15, v13
	v_div_fmas_f32 v5, v5, v14, v15
                                        ; implicit-def: $vgpr13_vgpr14
	v_div_fixup_f32 v15, v5, s71, v1
	v_and_b32_e32 v5, 0x7f800000, v15
	v_cmp_ne_u64_e32 vcc, s[6:7], v[5:6]
	s_and_saveexec_b64 s[0:1], vcc
	s_xor_b64 s[12:13], exec, s[0:1]
	s_cbranch_execz .LBB19_786
; %bb.771:                              ;   in Loop: Header=BB19_734 Depth=1
	v_and_b32_e32 v5, 0x7fffffff, v15
	v_cmp_gt_u64_e32 vcc, s[8:9], v[5:6]
	v_and_b32_sdwa v1, v15, s39 dst_sel:DWORD dst_unused:UNUSED_PAD src0_sel:BYTE_3 src1_sel:DWORD
                                        ; implicit-def: $vgpr13_vgpr14
	s_and_saveexec_b64 s[0:1], vcc
	s_xor_b64 s[14:15], exec, s[0:1]
	s_cbranch_execz .LBB19_783
; %bb.772:                              ;   in Loop: Header=BB19_734 Depth=1
	v_mov_b32_e32 v13, 0
	v_cmp_ne_u32_e32 vcc, 0, v15
	v_mov_b32_e32 v14, 0
	s_and_saveexec_b64 s[16:17], vcc
	s_cbranch_execz .LBB19_782
; %bb.773:                              ;   in Loop: Header=BB19_734 Depth=1
	v_bfe_u32 v16, v15, 23, 8
	v_sub_u32_e32 v13, 0x79, v16
	v_cmp_gt_u32_e32 vcc, s40, v16
	v_cndmask_b32_e32 v13, 0, v13, vcc
	v_cmp_eq_u32_e32 vcc, 0, v16
	v_cndmask_b32_e32 v17, v13, v19, vcc
	v_and_b32_e32 v5, 0x7fffff, v15
	v_add_u32_e32 v13, 20, v17
	v_or_b32_e32 v15, 0x800000, v5
	v_lshlrev_b64 v[13:14], v13, -1
	v_cndmask_b32_e32 v5, v15, v5, vcc
	v_bfi_b32 v22, v13, 0, v5
	v_add_u32_e32 v13, 19, v17
	v_bfi_b32 v23, v14, 0, 0
	v_lshlrev_b64 v[24:25], v13, 1
	v_lshrrev_b64 v[13:14], v17, v[5:6]
	v_cmp_eq_u64_e64 s[0:1], v[22:23], v[24:25]
	v_mov_b32_e32 v15, v14
	v_mov_b32_e32 v14, v13
	s_and_saveexec_b64 s[18:19], s[0:1]
; %bb.774:                              ;   in Loop: Header=BB19_734 Depth=1
	v_bfe_u32 v5, v13, 20, 1
	v_add_co_u32_e64 v5, s[0:1], v13, v5
	v_add_co_u32_e64 v14, s[0:1], -1, v5
; %bb.775:                              ;   in Loop: Header=BB19_734 Depth=1
	s_or_b64 exec, exec, s[18:19]
	v_add_u32_e32 v5, 0xffffff81, v16
	v_cndmask_b32_e32 v5, v5, v20, vcc
	v_lshrrev_b32_e32 v15, 23, v13
	v_add3_u32 v16, v17, v5, v15
	v_add_u32_e32 v15, 6, v16
	v_and_b32_e32 v5, 0xfffff, v14
	v_add_u32_e32 v5, v5, v13
	v_cmp_ne_u32_e32 vcc, 0, v15
                                        ; implicit-def: $vgpr13_vgpr14
                                        ; implicit-def: $vgpr17
	s_and_saveexec_b64 s[0:1], vcc
	s_xor_b64 s[0:1], exec, s[0:1]
; %bb.776:                              ;   in Loop: Header=BB19_734 Depth=1
	v_cmp_lt_u64_e32 vcc, s[10:11], v[5:6]
	v_add_u32_e32 v13, 7, v16
	v_cndmask_b32_e32 v17, v15, v13, vcc
	v_cndmask_b32_e64 v13, 0, 1, vcc
	v_lshrrev_b64 v[13:14], v13, v[5:6]
; %bb.777:                              ;   in Loop: Header=BB19_734 Depth=1
	s_andn2_saveexec_b64 s[0:1], s[0:1]
; %bb.778:                              ;   in Loop: Header=BB19_734 Depth=1
	v_mov_b32_e32 v14, v6
	v_bfe_u32 v17, v5, 23, 1
	v_mov_b32_e32 v13, v5
; %bb.779:                              ;   in Loop: Header=BB19_734 Depth=1
	s_or_b64 exec, exec, s[0:1]
	v_lshrrev_b64 v[13:14], 20, v[13:14]
	v_cmp_gt_i32_e32 vcc, 16, v17
	v_cndmask_b32_e32 v16, 0, v14, vcc
	v_cndmask_b32_e32 v15, 7, v13, vcc
	v_cmp_ne_u64_e32 vcc, 0, v[15:16]
	v_cmp_ne_u32_e64 s[0:1], 0, v17
	v_mov_b32_e32 v14, v2
	s_or_b64 s[0:1], s[0:1], vcc
	v_mov_b32_e32 v13, v1
	s_and_saveexec_b64 s[18:19], s[0:1]
	s_xor_b64 s[0:1], exec, s[18:19]
; %bb.780:                              ;   in Loop: Header=BB19_734 Depth=1
	v_min_i32_e32 v5, 15, v17
	v_lshl_or_b32 v1, v5, 3, v1
	v_and_or_b32 v13, v15, 7, v1
; %bb.781:                              ;   in Loop: Header=BB19_734 Depth=1
	s_andn2_saveexec_b64 s[0:1], s[0:1]
	s_or_b64 exec, exec, s[0:1]
.LBB19_782:                             ;   in Loop: Header=BB19_734 Depth=1
	s_or_b64 exec, exec, s[16:17]
                                        ; implicit-def: $vgpr1
.LBB19_783:                             ;   in Loop: Header=BB19_734 Depth=1
	s_andn2_saveexec_b64 s[0:1], s[14:15]
; %bb.784:                              ;   in Loop: Header=BB19_734 Depth=1
	v_or_b32_e32 v13, 0x7e, v1
; %bb.785:                              ;   in Loop: Header=BB19_734 Depth=1
	s_or_b64 exec, exec, s[0:1]
                                        ; implicit-def: $vgpr15
.LBB19_786:                             ;   in Loop: Header=BB19_734 Depth=1
	s_andn2_saveexec_b64 s[0:1], s[12:13]
; %bb.787:                              ;   in Loop: Header=BB19_734 Depth=1
	v_or_b32_sdwa v13, v15, s41 dst_sel:DWORD dst_unused:UNUSED_PAD src0_sel:BYTE_3 src1_sel:DWORD
; %bb.788:                              ;   in Loop: Header=BB19_734 Depth=1
	s_or_b64 exec, exec, s[0:1]
	v_and_b32_e32 v1, 0xffff0000, v2
	v_div_scale_f32 v2, s[0:1], s71, s71, v1
	v_div_scale_f32 v5, vcc, v1, s71, v1
	v_rcp_f32_e32 v14, v2
	v_fma_f32 v15, -v2, v14, 1.0
	v_fmac_f32_e32 v14, v15, v14
	v_mul_f32_e32 v15, v5, v14
	v_fma_f32 v16, -v2, v15, v5
	v_fmac_f32_e32 v15, v16, v14
	v_fma_f32 v2, -v2, v15, v5
	v_div_fmas_f32 v2, v2, v14, v15
	v_div_fixup_f32 v15, v2, s71, v1
	v_and_b32_e32 v5, 0x7f800000, v15
	v_cmp_ne_u64_e32 vcc, s[6:7], v[5:6]
                                        ; implicit-def: $vgpr1_vgpr2
	s_and_saveexec_b64 s[0:1], vcc
	s_xor_b64 s[12:13], exec, s[0:1]
	s_cbranch_execz .LBB19_804
; %bb.789:                              ;   in Loop: Header=BB19_734 Depth=1
	v_and_b32_e32 v5, 0x7fffffff, v15
	v_cmp_gt_u64_e32 vcc, s[8:9], v[5:6]
	v_and_b32_sdwa v14, v15, s39 dst_sel:DWORD dst_unused:UNUSED_PAD src0_sel:BYTE_3 src1_sel:DWORD
                                        ; implicit-def: $vgpr1_vgpr2
	s_and_saveexec_b64 s[0:1], vcc
	s_xor_b64 s[14:15], exec, s[0:1]
	s_cbranch_execz .LBB19_801
; %bb.790:                              ;   in Loop: Header=BB19_734 Depth=1
	v_mov_b32_e32 v1, 0
	v_cmp_ne_u32_e32 vcc, 0, v15
	v_mov_b32_e32 v2, 0
	s_and_saveexec_b64 s[16:17], vcc
	s_cbranch_execz .LBB19_800
; %bb.791:                              ;   in Loop: Header=BB19_734 Depth=1
	v_bfe_u32 v17, v15, 23, 8
	v_sub_u32_e32 v1, 0x79, v17
	v_cmp_gt_u32_e32 vcc, s40, v17
	v_cndmask_b32_e32 v1, 0, v1, vcc
	v_cmp_eq_u32_e32 vcc, 0, v17
	v_cndmask_b32_e32 v18, v1, v19, vcc
	v_and_b32_e32 v5, 0x7fffff, v15
	v_add_u32_e32 v1, 20, v18
	v_or_b32_e32 v15, 0x800000, v5
	v_lshlrev_b64 v[1:2], v1, -1
	v_cndmask_b32_e32 v5, v15, v5, vcc
	v_bfi_b32 v15, v1, 0, v5
	v_add_u32_e32 v1, 19, v18
	v_bfi_b32 v16, v2, 0, 0
	v_lshlrev_b64 v[22:23], v1, 1
	v_lshrrev_b64 v[1:2], v18, v[5:6]
	v_cmp_eq_u64_e64 s[0:1], v[15:16], v[22:23]
	v_mov_b32_e32 v16, v2
	v_mov_b32_e32 v15, v1
	s_and_saveexec_b64 s[18:19], s[0:1]
; %bb.792:                              ;   in Loop: Header=BB19_734 Depth=1
	v_bfe_u32 v2, v1, 20, 1
	v_add_co_u32_e64 v2, s[0:1], v1, v2
	v_add_co_u32_e64 v15, s[0:1], -1, v2
; %bb.793:                              ;   in Loop: Header=BB19_734 Depth=1
	s_or_b64 exec, exec, s[18:19]
	v_add_u32_e32 v2, 0xffffff81, v17
	v_cndmask_b32_e32 v2, v2, v20, vcc
	v_lshrrev_b32_e32 v5, 23, v1
	v_add3_u32 v18, v18, v2, v5
	v_add_u32_e32 v16, 6, v18
	v_and_b32_e32 v2, 0xfffff, v15
	v_add_u32_e32 v5, v2, v1
	v_cmp_ne_u32_e32 vcc, 0, v16
                                        ; implicit-def: $vgpr1_vgpr2
                                        ; implicit-def: $vgpr17
	s_and_saveexec_b64 s[0:1], vcc
	s_xor_b64 s[0:1], exec, s[0:1]
; %bb.794:                              ;   in Loop: Header=BB19_734 Depth=1
	v_cmp_lt_u64_e32 vcc, s[10:11], v[5:6]
	v_add_u32_e32 v1, 7, v18
	v_cndmask_b32_e32 v17, v16, v1, vcc
	v_cndmask_b32_e64 v1, 0, 1, vcc
	v_lshrrev_b64 v[1:2], v1, v[5:6]
; %bb.795:                              ;   in Loop: Header=BB19_734 Depth=1
	s_andn2_saveexec_b64 s[0:1], s[0:1]
; %bb.796:                              ;   in Loop: Header=BB19_734 Depth=1
	v_mov_b32_e32 v1, v5
	v_bfe_u32 v17, v5, 23, 1
	v_mov_b32_e32 v2, v6
; %bb.797:                              ;   in Loop: Header=BB19_734 Depth=1
	s_or_b64 exec, exec, s[0:1]
	v_lshrrev_b64 v[1:2], 20, v[1:2]
	v_cmp_gt_i32_e32 vcc, 16, v17
	v_cndmask_b32_e32 v16, 0, v2, vcc
	v_cndmask_b32_e32 v15, 7, v1, vcc
	v_cmp_ne_u64_e32 vcc, 0, v[15:16]
	v_cmp_ne_u32_e64 s[0:1], 0, v17
	s_or_b64 s[0:1], s[0:1], vcc
	v_mov_b32_e32 v1, v14
	v_mov_b32_e32 v2, v15
	s_and_saveexec_b64 s[18:19], s[0:1]
	s_xor_b64 s[0:1], exec, s[18:19]
; %bb.798:                              ;   in Loop: Header=BB19_734 Depth=1
	v_min_i32_e32 v1, 15, v17
	v_lshl_or_b32 v1, v1, 3, v14
	v_and_or_b32 v1, v15, 7, v1
; %bb.799:                              ;   in Loop: Header=BB19_734 Depth=1
	s_andn2_saveexec_b64 s[0:1], s[0:1]
	s_or_b64 exec, exec, s[0:1]
.LBB19_800:                             ;   in Loop: Header=BB19_734 Depth=1
	s_or_b64 exec, exec, s[16:17]
                                        ; implicit-def: $vgpr14
.LBB19_801:                             ;   in Loop: Header=BB19_734 Depth=1
	s_andn2_saveexec_b64 s[0:1], s[14:15]
; %bb.802:                              ;   in Loop: Header=BB19_734 Depth=1
	v_or_b32_e32 v1, 0x7e, v14
; %bb.803:                              ;   in Loop: Header=BB19_734 Depth=1
	s_or_b64 exec, exec, s[0:1]
                                        ; implicit-def: $vgpr15
.LBB19_804:                             ;   in Loop: Header=BB19_734 Depth=1
	s_andn2_saveexec_b64 s[0:1], s[12:13]
; %bb.805:                              ;   in Loop: Header=BB19_734 Depth=1
	v_or_b32_sdwa v1, v15, s41 dst_sel:DWORD dst_unused:UNUSED_PAD src0_sel:BYTE_3 src1_sel:DWORD
; %bb.806:                              ;   in Loop: Header=BB19_734 Depth=1
	s_or_b64 exec, exec, s[0:1]
	v_lshlrev_b32_e32 v2, 16, v3
	v_div_scale_f32 v5, s[0:1], s71, s71, v2
	v_div_scale_f32 v14, vcc, v2, s71, v2
	v_rcp_f32_e32 v15, v5
	v_fma_f32 v16, -v5, v15, 1.0
	v_fmac_f32_e32 v15, v16, v15
	v_mul_f32_e32 v16, v14, v15
	v_fma_f32 v17, -v5, v16, v14
	v_fmac_f32_e32 v16, v17, v15
	v_fma_f32 v5, -v5, v16, v14
	v_div_fmas_f32 v5, v5, v15, v16
                                        ; implicit-def: $vgpr14_vgpr15
	v_div_fixup_f32 v16, v5, s71, v2
	v_and_b32_e32 v5, 0x7f800000, v16
	v_cmp_ne_u64_e32 vcc, s[6:7], v[5:6]
	s_and_saveexec_b64 s[0:1], vcc
	s_xor_b64 s[12:13], exec, s[0:1]
	s_cbranch_execz .LBB19_822
; %bb.807:                              ;   in Loop: Header=BB19_734 Depth=1
	v_and_b32_e32 v5, 0x7fffffff, v16
	v_cmp_gt_u64_e32 vcc, s[8:9], v[5:6]
	v_and_b32_sdwa v2, v16, s39 dst_sel:DWORD dst_unused:UNUSED_PAD src0_sel:BYTE_3 src1_sel:DWORD
                                        ; implicit-def: $vgpr14_vgpr15
	s_and_saveexec_b64 s[0:1], vcc
	s_xor_b64 s[14:15], exec, s[0:1]
	s_cbranch_execz .LBB19_819
; %bb.808:                              ;   in Loop: Header=BB19_734 Depth=1
	v_mov_b32_e32 v14, 0
	v_cmp_ne_u32_e32 vcc, 0, v16
	v_mov_b32_e32 v15, 0
	s_and_saveexec_b64 s[16:17], vcc
	s_cbranch_execz .LBB19_818
; %bb.809:                              ;   in Loop: Header=BB19_734 Depth=1
	v_bfe_u32 v17, v16, 23, 8
	v_sub_u32_e32 v14, 0x79, v17
	v_cmp_gt_u32_e32 vcc, s40, v17
	v_cndmask_b32_e32 v14, 0, v14, vcc
	v_cmp_eq_u32_e32 vcc, 0, v17
	v_cndmask_b32_e32 v18, v14, v19, vcc
	v_and_b32_e32 v5, 0x7fffff, v16
	v_add_u32_e32 v14, 20, v18
	v_or_b32_e32 v16, 0x800000, v5
	v_lshlrev_b64 v[14:15], v14, -1
	v_cndmask_b32_e32 v5, v16, v5, vcc
	v_bfi_b32 v22, v14, 0, v5
	v_add_u32_e32 v14, 19, v18
	v_bfi_b32 v23, v15, 0, 0
	v_lshlrev_b64 v[24:25], v14, 1
	v_lshrrev_b64 v[14:15], v18, v[5:6]
	v_cmp_eq_u64_e64 s[0:1], v[22:23], v[24:25]
	v_mov_b32_e32 v16, v15
	v_mov_b32_e32 v15, v14
	s_and_saveexec_b64 s[18:19], s[0:1]
; %bb.810:                              ;   in Loop: Header=BB19_734 Depth=1
	v_bfe_u32 v5, v14, 20, 1
	v_add_co_u32_e64 v5, s[0:1], v14, v5
	v_add_co_u32_e64 v15, s[0:1], -1, v5
; %bb.811:                              ;   in Loop: Header=BB19_734 Depth=1
	s_or_b64 exec, exec, s[18:19]
	v_add_u32_e32 v5, 0xffffff81, v17
	v_cndmask_b32_e32 v5, v5, v20, vcc
	v_lshrrev_b32_e32 v16, 23, v14
	v_add3_u32 v17, v18, v5, v16
	v_add_u32_e32 v16, 6, v17
	v_and_b32_e32 v5, 0xfffff, v15
	v_add_u32_e32 v5, v5, v14
	v_cmp_ne_u32_e32 vcc, 0, v16
                                        ; implicit-def: $vgpr14_vgpr15
                                        ; implicit-def: $vgpr18
	s_and_saveexec_b64 s[0:1], vcc
	s_xor_b64 s[0:1], exec, s[0:1]
; %bb.812:                              ;   in Loop: Header=BB19_734 Depth=1
	v_cmp_lt_u64_e32 vcc, s[10:11], v[5:6]
	v_add_u32_e32 v14, 7, v17
	v_cndmask_b32_e32 v18, v16, v14, vcc
	v_cndmask_b32_e64 v14, 0, 1, vcc
	v_lshrrev_b64 v[14:15], v14, v[5:6]
; %bb.813:                              ;   in Loop: Header=BB19_734 Depth=1
	s_andn2_saveexec_b64 s[0:1], s[0:1]
; %bb.814:                              ;   in Loop: Header=BB19_734 Depth=1
	v_mov_b32_e32 v15, v6
	v_bfe_u32 v18, v5, 23, 1
	v_mov_b32_e32 v14, v5
; %bb.815:                              ;   in Loop: Header=BB19_734 Depth=1
	s_or_b64 exec, exec, s[0:1]
	v_lshrrev_b64 v[14:15], 20, v[14:15]
	v_cmp_gt_i32_e32 vcc, 16, v18
	v_cndmask_b32_e32 v17, 0, v15, vcc
	v_cndmask_b32_e32 v16, 7, v14, vcc
	v_cmp_ne_u64_e32 vcc, 0, v[16:17]
	v_cmp_ne_u32_e64 s[0:1], 0, v18
	v_mov_b32_e32 v15, v3
	s_or_b64 s[0:1], s[0:1], vcc
	v_mov_b32_e32 v14, v2
	s_and_saveexec_b64 s[18:19], s[0:1]
	s_xor_b64 s[0:1], exec, s[18:19]
; %bb.816:                              ;   in Loop: Header=BB19_734 Depth=1
	v_min_i32_e32 v5, 15, v18
	v_lshl_or_b32 v2, v5, 3, v2
	v_and_or_b32 v14, v16, 7, v2
; %bb.817:                              ;   in Loop: Header=BB19_734 Depth=1
	s_andn2_saveexec_b64 s[0:1], s[0:1]
	s_or_b64 exec, exec, s[0:1]
.LBB19_818:                             ;   in Loop: Header=BB19_734 Depth=1
	s_or_b64 exec, exec, s[16:17]
                                        ; implicit-def: $vgpr2
.LBB19_819:                             ;   in Loop: Header=BB19_734 Depth=1
	s_andn2_saveexec_b64 s[0:1], s[14:15]
; %bb.820:                              ;   in Loop: Header=BB19_734 Depth=1
	v_or_b32_e32 v14, 0x7e, v2
; %bb.821:                              ;   in Loop: Header=BB19_734 Depth=1
	s_or_b64 exec, exec, s[0:1]
                                        ; implicit-def: $vgpr16
.LBB19_822:                             ;   in Loop: Header=BB19_734 Depth=1
	s_andn2_saveexec_b64 s[0:1], s[12:13]
; %bb.823:                              ;   in Loop: Header=BB19_734 Depth=1
	v_or_b32_sdwa v14, v16, s41 dst_sel:DWORD dst_unused:UNUSED_PAD src0_sel:BYTE_3 src1_sel:DWORD
; %bb.824:                              ;   in Loop: Header=BB19_734 Depth=1
	s_or_b64 exec, exec, s[0:1]
	v_and_b32_e32 v2, 0xffff0000, v3
	v_div_scale_f32 v3, s[0:1], s71, s71, v2
	v_div_scale_f32 v5, vcc, v2, s71, v2
	v_rcp_f32_e32 v15, v3
	v_fma_f32 v16, -v3, v15, 1.0
	v_fmac_f32_e32 v15, v16, v15
	v_mul_f32_e32 v16, v5, v15
	v_fma_f32 v17, -v3, v16, v5
	v_fmac_f32_e32 v16, v17, v15
	v_fma_f32 v3, -v3, v16, v5
	v_div_fmas_f32 v3, v3, v15, v16
	v_div_fixup_f32 v16, v3, s71, v2
	v_and_b32_e32 v5, 0x7f800000, v16
	v_cmp_ne_u64_e32 vcc, s[6:7], v[5:6]
                                        ; implicit-def: $vgpr2_vgpr3
	s_and_saveexec_b64 s[0:1], vcc
	s_xor_b64 s[12:13], exec, s[0:1]
	s_cbranch_execz .LBB19_840
; %bb.825:                              ;   in Loop: Header=BB19_734 Depth=1
	v_and_b32_e32 v5, 0x7fffffff, v16
	v_cmp_gt_u64_e32 vcc, s[8:9], v[5:6]
	v_and_b32_sdwa v15, v16, s39 dst_sel:DWORD dst_unused:UNUSED_PAD src0_sel:BYTE_3 src1_sel:DWORD
                                        ; implicit-def: $vgpr2_vgpr3
	s_and_saveexec_b64 s[0:1], vcc
	s_xor_b64 s[14:15], exec, s[0:1]
	s_cbranch_execz .LBB19_837
; %bb.826:                              ;   in Loop: Header=BB19_734 Depth=1
	v_mov_b32_e32 v2, 0
	v_cmp_ne_u32_e32 vcc, 0, v16
	v_mov_b32_e32 v3, 0
	s_and_saveexec_b64 s[16:17], vcc
	s_cbranch_execz .LBB19_836
; %bb.827:                              ;   in Loop: Header=BB19_734 Depth=1
	v_bfe_u32 v18, v16, 23, 8
	v_sub_u32_e32 v2, 0x79, v18
	v_cmp_gt_u32_e32 vcc, s40, v18
	v_cndmask_b32_e32 v2, 0, v2, vcc
	v_cmp_eq_u32_e32 vcc, 0, v18
	v_cndmask_b32_e32 v22, v2, v19, vcc
	v_and_b32_e32 v5, 0x7fffff, v16
	v_add_u32_e32 v2, 20, v22
	v_or_b32_e32 v16, 0x800000, v5
	v_lshlrev_b64 v[2:3], v2, -1
	v_cndmask_b32_e32 v5, v16, v5, vcc
	v_bfi_b32 v16, v2, 0, v5
	v_add_u32_e32 v2, 19, v22
	v_bfi_b32 v17, v3, 0, 0
	v_lshlrev_b64 v[23:24], v2, 1
	v_lshrrev_b64 v[2:3], v22, v[5:6]
	v_cmp_eq_u64_e64 s[0:1], v[16:17], v[23:24]
	v_mov_b32_e32 v17, v3
	v_mov_b32_e32 v16, v2
	s_and_saveexec_b64 s[18:19], s[0:1]
; %bb.828:                              ;   in Loop: Header=BB19_734 Depth=1
	v_bfe_u32 v3, v2, 20, 1
	v_add_co_u32_e64 v3, s[0:1], v2, v3
	v_add_co_u32_e64 v16, s[0:1], -1, v3
; %bb.829:                              ;   in Loop: Header=BB19_734 Depth=1
	s_or_b64 exec, exec, s[18:19]
	v_add_u32_e32 v3, 0xffffff81, v18
	v_cndmask_b32_e32 v3, v3, v20, vcc
	v_lshrrev_b32_e32 v5, 23, v2
	v_add3_u32 v22, v22, v3, v5
	v_add_u32_e32 v17, 6, v22
	v_and_b32_e32 v3, 0xfffff, v16
	v_add_u32_e32 v5, v3, v2
	v_cmp_ne_u32_e32 vcc, 0, v17
                                        ; implicit-def: $vgpr2_vgpr3
                                        ; implicit-def: $vgpr18
	s_and_saveexec_b64 s[0:1], vcc
	s_xor_b64 s[0:1], exec, s[0:1]
; %bb.830:                              ;   in Loop: Header=BB19_734 Depth=1
	v_cmp_lt_u64_e32 vcc, s[10:11], v[5:6]
	v_add_u32_e32 v2, 7, v22
	v_cndmask_b32_e32 v18, v17, v2, vcc
	v_cndmask_b32_e64 v2, 0, 1, vcc
	v_lshrrev_b64 v[2:3], v2, v[5:6]
; %bb.831:                              ;   in Loop: Header=BB19_734 Depth=1
	s_andn2_saveexec_b64 s[0:1], s[0:1]
; %bb.832:                              ;   in Loop: Header=BB19_734 Depth=1
	v_mov_b32_e32 v2, v5
	v_bfe_u32 v18, v5, 23, 1
	v_mov_b32_e32 v3, v6
; %bb.833:                              ;   in Loop: Header=BB19_734 Depth=1
	s_or_b64 exec, exec, s[0:1]
	v_lshrrev_b64 v[2:3], 20, v[2:3]
	v_cmp_gt_i32_e32 vcc, 16, v18
	v_cndmask_b32_e32 v17, 0, v3, vcc
	v_cndmask_b32_e32 v16, 7, v2, vcc
	v_cmp_ne_u64_e32 vcc, 0, v[16:17]
	v_cmp_ne_u32_e64 s[0:1], 0, v18
	s_or_b64 s[0:1], s[0:1], vcc
	v_mov_b32_e32 v2, v15
	v_mov_b32_e32 v3, v16
	s_and_saveexec_b64 s[18:19], s[0:1]
	s_xor_b64 s[0:1], exec, s[18:19]
; %bb.834:                              ;   in Loop: Header=BB19_734 Depth=1
	v_min_i32_e32 v2, 15, v18
	v_lshl_or_b32 v2, v2, 3, v15
	v_and_or_b32 v2, v16, 7, v2
; %bb.835:                              ;   in Loop: Header=BB19_734 Depth=1
	s_andn2_saveexec_b64 s[0:1], s[0:1]
	s_or_b64 exec, exec, s[0:1]
.LBB19_836:                             ;   in Loop: Header=BB19_734 Depth=1
	s_or_b64 exec, exec, s[16:17]
                                        ; implicit-def: $vgpr15
.LBB19_837:                             ;   in Loop: Header=BB19_734 Depth=1
	s_andn2_saveexec_b64 s[0:1], s[14:15]
; %bb.838:                              ;   in Loop: Header=BB19_734 Depth=1
	v_or_b32_e32 v2, 0x7e, v15
; %bb.839:                              ;   in Loop: Header=BB19_734 Depth=1
	s_or_b64 exec, exec, s[0:1]
                                        ; implicit-def: $vgpr16
.LBB19_840:                             ;   in Loop: Header=BB19_734 Depth=1
	s_andn2_saveexec_b64 s[0:1], s[12:13]
; %bb.841:                              ;   in Loop: Header=BB19_734 Depth=1
	v_or_b32_sdwa v2, v16, s41 dst_sel:DWORD dst_unused:UNUSED_PAD src0_sel:BYTE_3 src1_sel:DWORD
; %bb.842:                              ;   in Loop: Header=BB19_734 Depth=1
	s_or_b64 exec, exec, s[0:1]
	v_lshlrev_b32_e32 v3, 16, v4
	v_div_scale_f32 v5, s[0:1], s71, s71, v3
	v_div_scale_f32 v15, vcc, v3, s71, v3
	v_rcp_f32_e32 v16, v5
	v_fma_f32 v17, -v5, v16, 1.0
	v_fmac_f32_e32 v16, v17, v16
	v_mul_f32_e32 v17, v15, v16
	v_fma_f32 v18, -v5, v17, v15
	v_fmac_f32_e32 v17, v18, v16
	v_fma_f32 v5, -v5, v17, v15
	v_div_fmas_f32 v5, v5, v16, v17
                                        ; implicit-def: $vgpr15_vgpr16
	v_div_fixup_f32 v17, v5, s71, v3
	v_and_b32_e32 v5, 0x7f800000, v17
	v_cmp_ne_u64_e32 vcc, s[6:7], v[5:6]
	s_and_saveexec_b64 s[0:1], vcc
	s_xor_b64 s[12:13], exec, s[0:1]
	s_cbranch_execz .LBB19_858
; %bb.843:                              ;   in Loop: Header=BB19_734 Depth=1
	v_and_b32_e32 v5, 0x7fffffff, v17
	v_cmp_gt_u64_e32 vcc, s[8:9], v[5:6]
	v_and_b32_sdwa v3, v17, s39 dst_sel:DWORD dst_unused:UNUSED_PAD src0_sel:BYTE_3 src1_sel:DWORD
                                        ; implicit-def: $vgpr15_vgpr16
	s_and_saveexec_b64 s[0:1], vcc
	s_xor_b64 s[14:15], exec, s[0:1]
	s_cbranch_execz .LBB19_855
; %bb.844:                              ;   in Loop: Header=BB19_734 Depth=1
	v_mov_b32_e32 v15, 0
	v_cmp_ne_u32_e32 vcc, 0, v17
	v_mov_b32_e32 v16, 0
	s_and_saveexec_b64 s[16:17], vcc
	s_cbranch_execz .LBB19_854
; %bb.845:                              ;   in Loop: Header=BB19_734 Depth=1
	v_bfe_u32 v18, v17, 23, 8
	v_sub_u32_e32 v15, 0x79, v18
	v_cmp_gt_u32_e32 vcc, s40, v18
	v_cndmask_b32_e32 v15, 0, v15, vcc
	v_cmp_eq_u32_e32 vcc, 0, v18
	v_cndmask_b32_e32 v22, v15, v19, vcc
	v_and_b32_e32 v5, 0x7fffff, v17
	v_add_u32_e32 v15, 20, v22
	v_or_b32_e32 v17, 0x800000, v5
	v_lshlrev_b64 v[15:16], v15, -1
	v_cndmask_b32_e32 v5, v17, v5, vcc
	v_bfi_b32 v23, v15, 0, v5
	v_add_u32_e32 v15, 19, v22
	v_bfi_b32 v24, v16, 0, 0
	v_lshlrev_b64 v[25:26], v15, 1
	v_lshrrev_b64 v[15:16], v22, v[5:6]
	v_cmp_eq_u64_e64 s[0:1], v[23:24], v[25:26]
	v_mov_b32_e32 v17, v16
	v_mov_b32_e32 v16, v15
	s_and_saveexec_b64 s[18:19], s[0:1]
; %bb.846:                              ;   in Loop: Header=BB19_734 Depth=1
	v_bfe_u32 v5, v15, 20, 1
	v_add_co_u32_e64 v5, s[0:1], v15, v5
	v_add_co_u32_e64 v16, s[0:1], -1, v5
; %bb.847:                              ;   in Loop: Header=BB19_734 Depth=1
	s_or_b64 exec, exec, s[18:19]
	v_add_u32_e32 v5, 0xffffff81, v18
	v_cndmask_b32_e32 v5, v5, v20, vcc
	v_lshrrev_b32_e32 v17, 23, v15
	v_add3_u32 v18, v22, v5, v17
	v_add_u32_e32 v17, 6, v18
	v_and_b32_e32 v5, 0xfffff, v16
	v_add_u32_e32 v5, v5, v15
	v_cmp_ne_u32_e32 vcc, 0, v17
                                        ; implicit-def: $vgpr15_vgpr16
                                        ; implicit-def: $vgpr22
	s_and_saveexec_b64 s[0:1], vcc
	s_xor_b64 s[0:1], exec, s[0:1]
; %bb.848:                              ;   in Loop: Header=BB19_734 Depth=1
	v_cmp_lt_u64_e32 vcc, s[10:11], v[5:6]
	v_add_u32_e32 v15, 7, v18
	v_cndmask_b32_e32 v22, v17, v15, vcc
	v_cndmask_b32_e64 v15, 0, 1, vcc
	v_lshrrev_b64 v[15:16], v15, v[5:6]
; %bb.849:                              ;   in Loop: Header=BB19_734 Depth=1
	s_andn2_saveexec_b64 s[0:1], s[0:1]
; %bb.850:                              ;   in Loop: Header=BB19_734 Depth=1
	v_mov_b32_e32 v16, v6
	v_bfe_u32 v22, v5, 23, 1
	v_mov_b32_e32 v15, v5
; %bb.851:                              ;   in Loop: Header=BB19_734 Depth=1
	s_or_b64 exec, exec, s[0:1]
	v_lshrrev_b64 v[15:16], 20, v[15:16]
	v_cmp_gt_i32_e32 vcc, 16, v22
	v_cndmask_b32_e32 v18, 0, v16, vcc
	v_cndmask_b32_e32 v17, 7, v15, vcc
	v_cmp_ne_u64_e32 vcc, 0, v[17:18]
	v_cmp_ne_u32_e64 s[0:1], 0, v22
	v_mov_b32_e32 v16, v4
	s_or_b64 s[0:1], s[0:1], vcc
	v_mov_b32_e32 v15, v3
	s_and_saveexec_b64 s[18:19], s[0:1]
	s_xor_b64 s[0:1], exec, s[18:19]
; %bb.852:                              ;   in Loop: Header=BB19_734 Depth=1
	v_min_i32_e32 v5, 15, v22
	v_lshl_or_b32 v3, v5, 3, v3
	v_and_or_b32 v15, v17, 7, v3
; %bb.853:                              ;   in Loop: Header=BB19_734 Depth=1
	s_andn2_saveexec_b64 s[0:1], s[0:1]
	s_or_b64 exec, exec, s[0:1]
.LBB19_854:                             ;   in Loop: Header=BB19_734 Depth=1
	s_or_b64 exec, exec, s[16:17]
                                        ; implicit-def: $vgpr3
.LBB19_855:                             ;   in Loop: Header=BB19_734 Depth=1
	s_andn2_saveexec_b64 s[0:1], s[14:15]
; %bb.856:                              ;   in Loop: Header=BB19_734 Depth=1
	v_or_b32_e32 v15, 0x7e, v3
; %bb.857:                              ;   in Loop: Header=BB19_734 Depth=1
	s_or_b64 exec, exec, s[0:1]
                                        ; implicit-def: $vgpr17
.LBB19_858:                             ;   in Loop: Header=BB19_734 Depth=1
	s_andn2_saveexec_b64 s[0:1], s[12:13]
; %bb.859:                              ;   in Loop: Header=BB19_734 Depth=1
	v_or_b32_sdwa v15, v17, s41 dst_sel:DWORD dst_unused:UNUSED_PAD src0_sel:BYTE_3 src1_sel:DWORD
; %bb.860:                              ;   in Loop: Header=BB19_734 Depth=1
	s_or_b64 exec, exec, s[0:1]
	v_and_b32_e32 v3, 0xffff0000, v4
	v_div_scale_f32 v4, s[0:1], s71, s71, v3
	v_div_scale_f32 v5, vcc, v3, s71, v3
	v_rcp_f32_e32 v16, v4
	v_fma_f32 v17, -v4, v16, 1.0
	v_fmac_f32_e32 v16, v17, v16
	v_mul_f32_e32 v17, v5, v16
	v_fma_f32 v18, -v4, v17, v5
	v_fmac_f32_e32 v17, v18, v16
	v_fma_f32 v4, -v4, v17, v5
	v_div_fmas_f32 v4, v4, v16, v17
	v_div_fixup_f32 v16, v4, s71, v3
	v_and_b32_e32 v5, 0x7f800000, v16
	v_cmp_ne_u64_e32 vcc, s[6:7], v[5:6]
                                        ; implicit-def: $vgpr4_vgpr5
	s_and_saveexec_b64 s[0:1], vcc
	s_xor_b64 s[12:13], exec, s[0:1]
	s_cbranch_execz .LBB19_876
; %bb.861:                              ;   in Loop: Header=BB19_734 Depth=1
	v_and_b32_e32 v5, 0x7fffffff, v16
	v_cmp_gt_u64_e32 vcc, s[8:9], v[5:6]
	v_and_b32_sdwa v3, v16, s39 dst_sel:DWORD dst_unused:UNUSED_PAD src0_sel:BYTE_3 src1_sel:DWORD
                                        ; implicit-def: $vgpr4_vgpr5
	s_and_saveexec_b64 s[0:1], vcc
	s_xor_b64 s[14:15], exec, s[0:1]
	s_cbranch_execz .LBB19_873
; %bb.862:                              ;   in Loop: Header=BB19_734 Depth=1
	v_mov_b32_e32 v4, 0
	v_cmp_ne_u32_e32 vcc, 0, v16
	v_mov_b32_e32 v5, 0
	s_and_saveexec_b64 s[16:17], vcc
	s_cbranch_execz .LBB19_872
; %bb.863:                              ;   in Loop: Header=BB19_734 Depth=1
	v_bfe_u32 v18, v16, 23, 8
	v_sub_u32_e32 v5, 0x79, v18
	v_cmp_gt_u32_e32 vcc, s40, v18
	v_cndmask_b32_e32 v5, 0, v5, vcc
	v_cmp_eq_u32_e32 vcc, 0, v18
	v_cndmask_b32_e32 v22, v5, v19, vcc
	v_and_b32_e32 v4, 0x7fffff, v16
	v_add_u32_e32 v5, 20, v22
	v_or_b32_e32 v23, 0x800000, v4
	v_lshlrev_b64 v[16:17], v5, -1
	v_cndmask_b32_e32 v5, v23, v4, vcc
	v_add_u32_e32 v4, 19, v22
	v_bfi_b32 v16, v16, 0, v5
	v_lshlrev_b64 v[23:24], v4, 1
	v_lshrrev_b64 v[4:5], v22, v[5:6]
	v_bfi_b32 v17, v17, 0, 0
	v_cmp_eq_u64_e64 s[0:1], v[16:17], v[23:24]
	v_mov_b32_e32 v17, v5
	v_mov_b32_e32 v16, v4
	s_and_saveexec_b64 s[18:19], s[0:1]
; %bb.864:                              ;   in Loop: Header=BB19_734 Depth=1
	v_bfe_u32 v5, v4, 20, 1
	v_add_co_u32_e64 v5, s[0:1], v4, v5
	v_add_co_u32_e64 v16, s[0:1], -1, v5
; %bb.865:                              ;   in Loop: Header=BB19_734 Depth=1
	s_or_b64 exec, exec, s[18:19]
	v_add_u32_e32 v5, 0xffffff81, v18
	v_cndmask_b32_e32 v5, v5, v20, vcc
	v_lshrrev_b32_e32 v17, 23, v4
	v_add3_u32 v23, v22, v5, v17
	v_add_u32_e32 v22, 6, v23
	v_and_b32_e32 v5, 0xfffff, v16
	v_add_u32_e32 v5, v5, v4
	v_cmp_ne_u32_e32 vcc, 0, v22
                                        ; implicit-def: $vgpr16_vgpr17
                                        ; implicit-def: $vgpr18
	s_and_saveexec_b64 s[0:1], vcc
	s_xor_b64 s[0:1], exec, s[0:1]
; %bb.866:                              ;   in Loop: Header=BB19_734 Depth=1
	v_cmp_lt_u64_e32 vcc, s[10:11], v[5:6]
	v_add_u32_e32 v4, 7, v23
	v_cndmask_b32_e32 v18, v22, v4, vcc
	v_cndmask_b32_e64 v4, 0, 1, vcc
	v_lshrrev_b64 v[16:17], v4, v[5:6]
; %bb.867:                              ;   in Loop: Header=BB19_734 Depth=1
	s_andn2_saveexec_b64 s[0:1], s[0:1]
; %bb.868:                              ;   in Loop: Header=BB19_734 Depth=1
	v_mov_b32_e32 v17, v6
	v_bfe_u32 v18, v5, 23, 1
	v_mov_b32_e32 v16, v5
; %bb.869:                              ;   in Loop: Header=BB19_734 Depth=1
	s_or_b64 exec, exec, s[0:1]
	v_lshrrev_b64 v[4:5], 20, v[16:17]
	v_cmp_gt_i32_e32 vcc, 16, v18
	v_cndmask_b32_e32 v17, 0, v5, vcc
	v_cndmask_b32_e32 v16, 7, v4, vcc
	v_cmp_ne_u64_e32 vcc, 0, v[16:17]
	v_cmp_ne_u32_e64 s[0:1], 0, v18
	v_mov_b32_e32 v5, v4
	s_or_b64 s[0:1], s[0:1], vcc
	v_mov_b32_e32 v4, v3
	s_and_saveexec_b64 s[18:19], s[0:1]
	s_xor_b64 s[0:1], exec, s[18:19]
; %bb.870:                              ;   in Loop: Header=BB19_734 Depth=1
	v_min_i32_e32 v4, 15, v18
	v_lshl_or_b32 v3, v4, 3, v3
	v_and_or_b32 v4, v16, 7, v3
; %bb.871:                              ;   in Loop: Header=BB19_734 Depth=1
	s_andn2_saveexec_b64 s[0:1], s[0:1]
	s_or_b64 exec, exec, s[0:1]
.LBB19_872:                             ;   in Loop: Header=BB19_734 Depth=1
	s_or_b64 exec, exec, s[16:17]
                                        ; implicit-def: $vgpr3
.LBB19_873:                             ;   in Loop: Header=BB19_734 Depth=1
	s_andn2_saveexec_b64 s[0:1], s[14:15]
; %bb.874:                              ;   in Loop: Header=BB19_734 Depth=1
	v_or_b32_e32 v4, 0x7e, v3
; %bb.875:                              ;   in Loop: Header=BB19_734 Depth=1
	s_or_b64 exec, exec, s[0:1]
                                        ; implicit-def: $vgpr16
.LBB19_876:                             ;   in Loop: Header=BB19_734 Depth=1
	s_andn2_saveexec_b64 s[0:1], s[12:13]
	s_cbranch_execz .LBB19_733
; %bb.877:                              ;   in Loop: Header=BB19_734 Depth=1
	v_or_b32_sdwa v4, v16, s41 dst_sel:DWORD dst_unused:UNUSED_PAD src0_sel:BYTE_3 src1_sel:DWORD
	s_branch .LBB19_733
.LBB19_878:
	s_or_b64 exec, exec, s[2:3]
	v_lshl_add_u32 v1, s20, 3, v0
	v_cmp_gt_i32_e32 vcc, s49, v1
	s_and_saveexec_b64 s[38:39], vcc
	s_cbranch_execz .LBB19_906
; %bb.879:
	v_add_u32_e32 v2, 1, v1
	v_max_i32_e32 v2, s49, v2
	s_and_b32 s0, s62, 0xffff
	v_sub_u32_e32 v11, v2, v1
	s_cmp_eq_u32 s0, 1
	v_cmp_lt_u32_e32 vcc, 1, v11
	s_cselect_b64 s[0:1], -1, 0
	s_and_b64 s[2:3], vcc, s[0:1]
	s_mov_b64 s[0:1], -1
	s_and_saveexec_b64 s[40:41], s[2:3]
	s_cbranch_execz .LBB19_883
; %bb.880:
	s_lshl_b64 s[0:1], s[36:37], 1
	s_add_u32 s50, s72, s0
	v_readlane_b32 s0, v63, 0
	s_addc_u32 s0, s0, s1
	s_add_u32 s51, s74, s36
	s_addc_u32 s1, s75, s37
	v_and_b32_e32 v12, -2, v11
	s_mov_b32 s52, s71
	s_mov_b64 s[44:45], 0
	v_mov_b32_e32 v13, s1
	v_mov_b32_e32 v14, s0
	s_movk_i32 s53, 0x80
	s_mov_b32 s54, 0x7f800000
	s_mov_b32 s55, 0x43e00001
	s_movk_i32 s56, 0xff81
	s_movk_i32 s57, 0x7a
	;; [unrolled: 1-line block ×3, first 2 shown]
	v_mov_b32_e32 v15, 0xffffff82
	v_mov_b32_e32 v16, 0x78
	;; [unrolled: 1-line block ×3, first 2 shown]
	s_mov_b64 s[46:47], 0xffffff
	s_movk_i32 s59, 0x7f
	v_mov_b32_e32 v4, v1
	v_mov_b32_e32 v17, v12
.LBB19_881:                             ; =>This Inner Loop Header: Depth=1
	v_ashrrev_i32_e32 v5, 31, v4
	v_add_co_u32_e32 v9, vcc, s51, v4
	v_lshlrev_b64 v[18:19], 1, v[4:5]
	v_addc_co_u32_e32 v10, vcc, v13, v5, vcc
	v_add_co_u32_e32 v18, vcc, s50, v18
	v_addc_co_u32_e32 v19, vcc, v14, v19, vcc
	global_load_dword v2, v[18:19], off
	v_mov_b32_e32 v6, v3
	v_mov_b32_e32 v7, v3
	;; [unrolled: 1-line block ×3, first 2 shown]
	v_add_u32_e32 v17, -2, v17
	v_cmp_eq_u32_e64 s[0:1], 0, v17
	v_add_u32_e32 v4, 2, v4
	s_waitcnt vmcnt(0)
	v_lshlrev_b32_e32 v5, 16, v2
	v_and_b32_e32 v2, 0xffff0000, v2
	v_div_scale_f32 v18, s[2:3], s52, s52, v2
	v_div_scale_f32 v19, s[2:3], s71, s71, v5
	v_div_scale_f32 v20, vcc, v2, s52, v2
	v_div_scale_f32 v21, s[2:3], v5, s71, v5
	v_rcp_f32_e32 v22, v18
	v_rcp_f32_e32 v23, v19
	v_fma_f32 v24, -v18, v22, 1.0
	v_fmac_f32_e32 v22, v24, v22
	v_fma_f32 v25, -v19, v23, 1.0
	v_fmac_f32_e32 v23, v25, v23
	v_mul_f32_e32 v24, v20, v22
	v_mul_f32_e32 v25, v21, v23
	v_fma_f32 v26, -v18, v24, v20
	v_fma_f32 v27, -v19, v25, v21
	v_fmac_f32_e32 v24, v26, v22
	v_fmac_f32_e32 v25, v27, v23
	v_fma_f32 v18, -v18, v24, v20
	v_fma_f32 v19, -v19, v25, v21
	v_div_fmas_f32 v18, v18, v22, v24
	s_mov_b64 vcc, s[2:3]
	v_div_fmas_f32 v19, v19, v23, v25
	v_div_fixup_f32 v2, v18, s52, v2
	v_lshrrev_b32_e32 v20, 23, v2
	v_div_fixup_f32 v5, v19, s71, v5
	v_and_b32_e32 v19, 0x7fffff, v2
	v_lshrrev_b32_e32 v23, 23, v5
	v_sub_u32_sdwa v25, s58, v20 dst_sel:DWORD dst_unused:UNUSED_PAD src0_sel:DWORD src1_sel:BYTE_0
	v_cmp_lt_u32_sdwa s[8:9], v20, s57 src0_sel:BYTE_0 src1_sel:DWORD
	v_and_b32_e32 v21, 0x7f800000, v2
	v_and_b32_e32 v22, 0x7fffffff, v2
	v_add_u32_sdwa v24, v20, s56 dst_sel:DWORD dst_unused:UNUSED_PAD src0_sel:BYTE_0 src1_sel:DWORD
	v_cmp_eq_u32_sdwa s[14:15], v20, v3 src0_sel:BYTE_0 src1_sel:DWORD
	v_or_b32_e32 v20, 0x800000, v19
	v_sub_u32_sdwa v27, s58, v23 dst_sel:DWORD dst_unused:UNUSED_PAD src0_sel:DWORD src1_sel:BYTE_0
	v_cndmask_b32_e64 v25, 0, v25, s[8:9]
	v_cmp_lt_u32_sdwa s[20:21], v23, s57 src0_sel:BYTE_0 src1_sel:DWORD
	v_and_b32_sdwa v29, v2, s53 dst_sel:DWORD dst_unused:UNUSED_PAD src0_sel:BYTE_3 src1_sel:DWORD
	v_cmp_eq_u32_e32 vcc, 0, v2
	v_cmp_ne_u32_e64 s[12:13], 0, v2
	v_or_b32_sdwa v18, v2, s59 dst_sel:DWORD dst_unused:UNUSED_PAD src0_sel:BYTE_3 src1_sel:DWORD
	v_and_b32_e32 v2, 0x7fffff, v5
	v_cmp_gt_u32_e64 s[4:5], s55, v22
	v_and_b32_sdwa v31, v5, s53 dst_sel:DWORD dst_unused:UNUSED_PAD src0_sel:BYTE_3 src1_sel:DWORD
	v_and_b32_e32 v22, 0x7f800000, v5
	v_cmp_ne_u32_e64 s[2:3], s54, v21
	v_and_b32_e32 v21, 0x7fffffff, v5
	v_cmp_eq_u32_e64 s[6:7], 0, v5
	v_cmp_ne_u32_e64 s[16:17], 0, v5
	v_or_b32_sdwa v32, v5, s59 dst_sel:DWORD dst_unused:UNUSED_PAD src0_sel:BYTE_3 src1_sel:DWORD
	v_cmp_eq_u32_sdwa s[18:19], v23, v3 src0_sel:BYTE_0 src1_sel:DWORD
	v_cndmask_b32_e64 v5, v20, v19, s[14:15]
	v_cndmask_b32_e64 v19, 0, v27, s[20:21]
	;; [unrolled: 1-line block ×3, first 2 shown]
	v_or_b32_e32 v28, 0x800000, v2
	v_cmp_gt_u32_e64 s[10:11], s55, v21
	v_cndmask_b32_e64 v37, v19, v16, s[18:19]
	v_add_u32_e32 v21, 20, v36
	v_lshrrev_b64 v[19:20], v36, v[5:6]
	v_cmp_ne_u32_e64 s[8:9], s54, v22
	v_cndmask_b32_e64 v2, v28, v2, s[18:19]
	v_add_u32_e32 v22, 19, v36
	v_lshlrev_b64 v[20:21], v21, -1
	v_add_u32_sdwa v26, v23, s56 dst_sel:DWORD dst_unused:UNUSED_PAD src0_sel:BYTE_0 src1_sel:DWORD
	v_cndmask_b32_e64 v33, v24, v15, s[14:15]
	v_lshlrev_b64 v[22:23], v22, 1
	v_add_u32_e32 v6, 20, v37
	v_lshrrev_b64 v[24:25], v37, v[2:3]
	v_cndmask_b32_e64 v35, v26, v15, s[18:19]
	v_add_u32_e32 v27, 19, v37
	v_lshlrev_b64 v[25:26], v6, -1
	v_bfi_b32 v6, v21, 0, 0
	v_bfi_b32 v5, v20, 0, v5
	v_lshlrev_b64 v[27:28], v27, 1
	v_cmp_ne_u64_e64 s[14:15], v[5:6], v[22:23]
	s_and_b64 s[60:61], s[2:3], s[4:5]
	v_lshrrev_b32_e32 v38, 23, v19
	v_bfi_b32 v6, v26, 0, 0
	v_bfi_b32 v5, v25, 0, v2
	s_and_b64 s[72:73], s[60:61], s[12:13]
	v_bfe_u32 v39, v19, 20, 1
	v_add3_u32 v20, v36, v33, v38
	v_lshrrev_b32_e32 v33, 23, v24
	v_cmp_ne_u64_e64 s[18:19], v[5:6], v[27:28]
	s_and_b64 s[12:13], s[12:13], s[14:15]
	v_add3_u32 v21, v19, v39, -1
	v_add3_u32 v2, v37, v35, v33
	s_and_b64 s[12:13], s[12:13], s[4:5]
	v_bfe_u32 v36, v24, 20, 1
	v_add_u32_e32 v5, 6, v2
	v_add_u32_e32 v25, 7, v2
	v_cndmask_b32_e64 v2, v21, v19, s[12:13]
	s_and_b64 s[12:13], s[16:17], s[18:19]
	v_add3_u32 v22, v24, v36, -1
	v_and_b32_e32 v2, 0xfffff, v2
	s_and_b64 s[12:13], s[12:13], s[10:11]
	v_cndmask_b32_e64 v21, v22, v24, s[12:13]
	v_add_u32_e32 v6, v2, v19
	v_and_b32_e32 v2, 0xfffff, v21
	v_cmp_lt_u64_e64 s[12:13], s[46:47], v[6:7]
	s_and_b64 s[20:21], s[8:9], s[10:11]
	v_add_u32_e32 v23, 6, v20
	v_add_u32_e32 v20, 7, v20
	;; [unrolled: 1-line block ×3, first 2 shown]
	s_and_b64 s[74:75], s[20:21], s[16:17]
	v_cndmask_b32_e64 v19, v23, v20, s[12:13]
	v_lshrrev_b32_e32 v20, 23, v6
	v_cmp_ne_u32_e64 s[14:15], 0, v23
	v_cmp_lt_u64_e64 s[16:17], s[46:47], v[2:3]
	v_and_b32_e32 v20, 1, v20
	v_lshrrev_b32_e32 v22, 23, v2
	s_and_b64 s[12:13], s[14:15], s[12:13]
	v_cndmask_b32_e64 v21, v5, v25, s[16:17]
	v_and_b32_e32 v22, 1, v22
	v_cndmask_b32_e64 v19, v20, v19, s[14:15]
	v_cndmask_b32_e64 v20, 0, 1, s[12:13]
	v_cmp_ne_u32_e64 s[12:13], 0, v5
	v_cndmask_b32_e64 v21, v22, v21, s[12:13]
	v_lshrrev_b64 v[5:6], v20, v[6:7]
	s_and_b64 s[12:13], s[12:13], s[16:17]
	v_cndmask_b32_e64 v6, 0, 1, s[12:13]
	v_cmp_eq_u32_e64 s[12:13], 0, v19
	v_lshrrev_b64 v[6:7], v6, v[2:3]
	v_min_i32_e32 v20, 15, v19
	v_min_i32_e32 v2, 15, v21
	s_and_b64 s[16:17], s[72:73], s[12:13]
	v_lshrrev_b32_e32 v5, 20, v5
	v_cmp_gt_i32_e64 s[12:13], 16, v19
	v_lshlrev_b32_e32 v7, 3, v20
	v_lshlrev_b32_e32 v19, 3, v2
	v_lshrrev_b32_e32 v6, 20, v6
	v_cndmask_b32_e64 v2, 7, v5, s[12:13]
	v_cmp_gt_i32_e64 s[12:13], 16, v21
	v_cmp_eq_u32_e64 s[14:15], 0, v21
	v_or_b32_e32 v20, v7, v29
	v_cndmask_b32_e64 v7, 7, v6, s[12:13]
	v_cmp_eq_u64_e64 s[12:13], 0, v[2:3]
	s_and_b64 s[18:19], s[74:75], s[14:15]
	v_cmp_eq_u64_e64 s[14:15], 0, v[7:8]
	v_or_b32_e32 v5, v19, v31
	v_and_or_b32 v2, v2, 7, v20
	s_and_b64 s[12:13], s[16:17], s[12:13]
	v_and_or_b32 v5, v7, 7, v5
	v_cndmask_b32_e64 v2, v2, v29, s[12:13]
	s_and_b64 s[12:13], s[60:61], vcc
	s_and_b64 vcc, s[18:19], s[14:15]
	v_or_b32_e32 v30, 0x7e, v29
	v_cndmask_b32_e32 v5, v5, v31, vcc
	v_cndmask_b32_e64 v2, v2, 0, s[12:13]
	s_and_b64 s[6:7], s[20:21], s[6:7]
	v_or_b32_e32 v34, 0x7e, v31
	v_cndmask_b32_e64 v5, v5, 0, s[6:7]
	v_cndmask_b32_e64 v2, v30, v2, s[4:5]
	;; [unrolled: 1-line block ×4, first 2 shown]
	v_lshlrev_b16_e32 v2, 8, v2
	v_cndmask_b32_e64 v5, v32, v5, s[8:9]
	s_or_b64 s[44:45], s[0:1], s[44:45]
	v_or_b32_sdwa v2, v5, v2 dst_sel:DWORD dst_unused:UNUSED_PAD src0_sel:BYTE_0 src1_sel:DWORD
	global_store_short v[9:10], v2, off
	s_andn2_b64 exec, exec, s[44:45]
	s_cbranch_execnz .LBB19_881
; %bb.882:
	s_or_b64 exec, exec, s[44:45]
	v_cmp_ne_u32_e32 vcc, v11, v12
	v_add_u32_e32 v1, v1, v12
	s_orn2_b64 s[0:1], vcc, exec
.LBB19_883:
	s_or_b64 exec, exec, s[40:41]
	s_and_b64 exec, exec, s[0:1]
	s_cbranch_execz .LBB19_906
; %bb.884:
	s_lshl_b64 s[0:1], s[36:37], 1
	s_add_u32 s0, s42, s0
	s_addc_u32 s1, s43, s1
	v_ashrrev_i32_e32 v2, 31, v1
	v_lshlrev_b64 v[4:5], 1, v[1:2]
	s_add_u32 s0, s24, s0
	s_addc_u32 s1, s25, s1
	s_lshl_b32 s20, s62, 1
	v_add_co_u32_e32 v4, vcc, s0, v4
	s_add_u32 s0, s36, s64
	v_mov_b32_e32 v6, s1
	s_addc_u32 s1, s37, s63
	s_add_u32 s0, s0, s66
	s_addc_u32 s1, s1, s65
	s_add_u32 s0, s28, s0
	v_addc_co_u32_e32 v5, vcc, v6, v5, vcc
	s_addc_u32 s1, s29, s1
	v_mov_b32_e32 v6, s1
	v_add_co_u32_e32 v9, vcc, s0, v1
	v_mov_b32_e32 v3, 0
	v_addc_co_u32_e32 v10, vcc, v6, v2, vcc
	s_mov_b64 s[2:3], 0
	s_mov_b64 s[4:5], 0x7f800000
	s_movk_i32 s21, 0x80
	s_mov_b64 s[6:7], 0x43e00001
	s_movk_i32 s36, 0x7a
	;; [unrolled: 2-line block ×3, first 2 shown]
	v_mov_b32_e32 v11, 0x78
	v_mov_b32_e32 v12, 0xffffff82
	s_mov_b64 s[10:11], 0
	s_branch .LBB19_886
.LBB19_885:                             ;   in Loop: Header=BB19_886 Depth=1
	s_or_b64 exec, exec, s[0:1]
	v_mov_b32_e32 v7, s11
	v_add_co_u32_e32 v6, vcc, s10, v9
	v_addc_co_u32_e32 v7, vcc, v10, v7, vcc
	s_add_u32 s10, s10, s62
	global_store_byte v[6:7], v2, off
	v_add_u32_e32 v2, s10, v1
	s_addc_u32 s11, s11, 0
	v_cmp_le_i32_e32 vcc, s49, v2
	s_or_b64 s[2:3], vcc, s[2:3]
	v_add_co_u32_e32 v4, vcc, s20, v4
	v_addc_co_u32_e32 v5, vcc, 0, v5, vcc
	s_andn2_b64 exec, exec, s[2:3]
	s_cbranch_execz .LBB19_906
.LBB19_886:                             ; =>This Inner Loop Header: Depth=1
	global_load_ushort v2, v[4:5], off
	s_waitcnt vmcnt(0)
	v_lshlrev_b32_e32 v2, 16, v2
	v_div_scale_f32 v6, s[0:1], s71, s71, v2
	v_div_scale_f32 v7, vcc, v2, s71, v2
	v_rcp_f32_e32 v8, v6
	v_fma_f32 v13, -v6, v8, 1.0
	v_fmac_f32_e32 v8, v13, v8
	v_mul_f32_e32 v13, v7, v8
	v_fma_f32 v14, -v6, v13, v7
	v_fmac_f32_e32 v13, v14, v8
	v_fma_f32 v6, -v6, v13, v7
	v_div_fmas_f32 v6, v6, v8, v13
	v_div_fixup_f32 v6, v6, s71, v2
	v_and_b32_e32 v2, 0x7f800000, v6
	v_cmp_ne_u64_e32 vcc, s[4:5], v[2:3]
                                        ; implicit-def: $vgpr2
	s_and_saveexec_b64 s[0:1], vcc
	s_xor_b64 s[12:13], exec, s[0:1]
	s_cbranch_execz .LBB19_904
; %bb.887:                              ;   in Loop: Header=BB19_886 Depth=1
	v_and_b32_e32 v2, 0x7fffffff, v6
	v_cmp_gt_u64_e32 vcc, s[6:7], v[2:3]
	v_and_b32_sdwa v13, v6, s21 dst_sel:DWORD dst_unused:UNUSED_PAD src0_sel:BYTE_3 src1_sel:DWORD
                                        ; implicit-def: $vgpr2
	s_and_saveexec_b64 s[0:1], vcc
	s_xor_b64 s[14:15], exec, s[0:1]
	s_cbranch_execz .LBB19_901
; %bb.888:                              ;   in Loop: Header=BB19_886 Depth=1
	v_cmp_ne_u32_e32 vcc, 0, v6
	v_mov_b32_e32 v2, 0
	s_and_saveexec_b64 s[16:17], vcc
	s_cbranch_execz .LBB19_900
; %bb.889:                              ;   in Loop: Header=BB19_886 Depth=1
	v_bfe_u32 v14, v6, 23, 8
	v_and_b32_e32 v2, 0x7fffff, v6
	v_sub_u32_e32 v6, 0x79, v14
	v_cmp_gt_u32_e32 vcc, s36, v14
	v_cndmask_b32_e32 v6, 0, v6, vcc
	v_cmp_eq_u32_e32 vcc, 0, v14
	v_cndmask_b32_e32 v15, v6, v11, vcc
	v_add_u32_e32 v6, 20, v15
	v_or_b32_e32 v8, 0x800000, v2
	v_lshlrev_b64 v[6:7], v6, -1
	v_cndmask_b32_e32 v2, v8, v2, vcc
	v_bfi_b32 v16, v6, 0, v2
	v_add_u32_e32 v6, 19, v15
	v_bfi_b32 v17, v7, 0, 0
	v_lshlrev_b64 v[18:19], v6, 1
	v_lshrrev_b64 v[6:7], v15, v[2:3]
	v_cmp_eq_u64_e64 s[0:1], v[16:17], v[18:19]
	v_mov_b32_e32 v8, v7
	v_mov_b32_e32 v7, v6
	s_and_saveexec_b64 s[18:19], s[0:1]
; %bb.890:                              ;   in Loop: Header=BB19_886 Depth=1
	v_bfe_u32 v2, v6, 20, 1
	v_add_co_u32_e64 v2, s[0:1], v6, v2
	v_add_co_u32_e64 v7, s[0:1], -1, v2
; %bb.891:                              ;   in Loop: Header=BB19_886 Depth=1
	s_or_b64 exec, exec, s[18:19]
	v_add_u32_e32 v2, 0xffffff81, v14
	v_cndmask_b32_e32 v2, v2, v12, vcc
	v_lshrrev_b32_e32 v8, 23, v6
	v_add3_u32 v15, v15, v2, v8
	v_add_u32_e32 v14, 6, v15
	v_and_b32_e32 v2, 0xfffff, v7
	v_add_u32_e32 v2, v2, v6
	v_cmp_ne_u32_e32 vcc, 0, v14
                                        ; implicit-def: $vgpr6_vgpr7
                                        ; implicit-def: $vgpr8
	s_and_saveexec_b64 s[0:1], vcc
	s_xor_b64 s[0:1], exec, s[0:1]
; %bb.892:                              ;   in Loop: Header=BB19_886 Depth=1
	v_cmp_lt_u64_e32 vcc, s[8:9], v[2:3]
	v_add_u32_e32 v6, 7, v15
	v_cndmask_b32_e32 v8, v14, v6, vcc
	v_cndmask_b32_e64 v6, 0, 1, vcc
	v_lshrrev_b64 v[6:7], v6, v[2:3]
; %bb.893:                              ;   in Loop: Header=BB19_886 Depth=1
	s_andn2_saveexec_b64 s[0:1], s[0:1]
; %bb.894:                              ;   in Loop: Header=BB19_886 Depth=1
	v_mov_b32_e32 v7, v3
	v_bfe_u32 v8, v2, 23, 1
	v_mov_b32_e32 v6, v2
; %bb.895:                              ;   in Loop: Header=BB19_886 Depth=1
	s_or_b64 exec, exec, s[0:1]
	v_lshrrev_b64 v[6:7], 20, v[6:7]
	v_cmp_gt_i32_e32 vcc, 16, v8
	v_cndmask_b32_e32 v7, 0, v7, vcc
	v_cndmask_b32_e32 v6, 7, v6, vcc
	v_cmp_ne_u64_e32 vcc, 0, v[6:7]
	v_cmp_ne_u32_e64 s[0:1], 0, v8
	s_or_b64 s[0:1], s[0:1], vcc
                                        ; implicit-def: $vgpr2
	s_and_saveexec_b64 s[18:19], s[0:1]
	s_xor_b64 s[0:1], exec, s[18:19]
; %bb.896:                              ;   in Loop: Header=BB19_886 Depth=1
	v_min_i32_e32 v2, 15, v8
	v_lshl_or_b32 v2, v2, 3, v13
	v_and_or_b32 v2, v6, 7, v2
                                        ; implicit-def: $vgpr13
; %bb.897:                              ;   in Loop: Header=BB19_886 Depth=1
	s_andn2_saveexec_b64 s[0:1], s[0:1]
; %bb.898:                              ;   in Loop: Header=BB19_886 Depth=1
	v_mov_b32_e32 v2, v13
; %bb.899:                              ;   in Loop: Header=BB19_886 Depth=1
	s_or_b64 exec, exec, s[0:1]
.LBB19_900:                             ;   in Loop: Header=BB19_886 Depth=1
	s_or_b64 exec, exec, s[16:17]
                                        ; implicit-def: $vgpr13
.LBB19_901:                             ;   in Loop: Header=BB19_886 Depth=1
	s_andn2_saveexec_b64 s[0:1], s[14:15]
; %bb.902:                              ;   in Loop: Header=BB19_886 Depth=1
	v_or_b32_e32 v2, 0x7e, v13
; %bb.903:                              ;   in Loop: Header=BB19_886 Depth=1
	s_or_b64 exec, exec, s[0:1]
                                        ; implicit-def: $vgpr6
.LBB19_904:                             ;   in Loop: Header=BB19_886 Depth=1
	s_andn2_saveexec_b64 s[0:1], s[12:13]
	s_cbranch_execz .LBB19_885
; %bb.905:                              ;   in Loop: Header=BB19_886 Depth=1
	v_or_b32_sdwa v2, v6, s37 dst_sel:DWORD dst_unused:UNUSED_PAD src0_sel:BYTE_3 src1_sel:DWORD
	s_branch .LBB19_885
.LBB19_906:
	s_or_b64 exec, exec, s[38:39]
	s_mov_b64 s[0:1], 0
.LBB19_907:
	s_and_b64 vcc, exec, s[0:1]
	s_cbranch_vccz .LBB19_1056
; %bb.908:
	s_ashr_i32 s20, s48, 3
	v_cmp_gt_i32_e32 vcc, s20, v0
	s_and_saveexec_b64 s[2:3], vcc
	s_cbranch_execz .LBB19_1055
; %bb.909:
	s_add_u32 s0, s64, s66
	s_addc_u32 s1, s63, s65
	s_add_u32 s0, s28, s0
	v_lshlrev_b32_e32 v1, 3, v0
	s_addc_u32 s1, s29, s1
	s_lshl_b32 s21, s62, 3
	v_mov_b32_e32 v2, s1
	v_add_co_u32_e32 v7, vcc, s0, v1
	s_add_u32 s0, s24, s42
	v_addc_co_u32_e32 v8, vcc, 0, v2, vcc
	v_lshlrev_b32_e32 v1, 4, v0
	s_addc_u32 s1, s25, s43
	v_mov_b32_e32 v2, s1
	v_add_co_u32_e32 v9, vcc, s0, v1
	v_mov_b32_e32 v6, 0
	v_addc_co_u32_e32 v10, vcc, 0, v2, vcc
	s_lshl_b32 s24, s62, 4
	s_mov_b64 s[4:5], 0
	s_mov_b64 s[6:7], 0x7f800000
	s_movk_i32 s25, 0x80
	s_mov_b64 s[8:9], 0x43e00001
	s_movk_i32 s28, 0x7a
	s_mov_b64 s[10:11], 0xffffff
	s_movk_i32 s29, 0x7f
	s_mov_b32 s36, 0xff00
	s_mov_b32 s37, 0x4020c0c
	v_mov_b32_e32 v19, 0x78
	v_mov_b32_e32 v20, 0xffffff82
	;; [unrolled: 1-line block ×3, first 2 shown]
	s_branch .LBB19_911
.LBB19_910:                             ;   in Loop: Header=BB19_911 Depth=1
	s_or_b64 exec, exec, s[0:1]
	v_lshlrev_b32_e32 v3, 24, v4
	v_lshlrev_b32_e32 v4, 16, v15
	v_and_b32_e32 v4, 0xff0000, v4
	v_lshlrev_b32_e32 v2, 8, v2
	v_or_b32_e32 v3, v3, v4
	v_and_b32_e32 v2, 0xff00, v2
	v_and_b32_e32 v4, 0xff, v14
	v_or3_b32 v2, v3, v2, v4
	v_lshlrev_b32_e32 v3, 16, v13
	v_lshlrev_b32_e32 v4, 8, v12
	v_perm_b32 v1, v1, v3, s37
	v_and_or_b32 v1, v4, s36, v1
	v_or_b32_sdwa v1, v1, v11 dst_sel:DWORD dst_unused:UNUSED_PAD src0_sel:DWORD src1_sel:BYTE_0
	global_store_dwordx2 v[7:8], v[1:2], off
	v_add_co_u32_e32 v7, vcc, s21, v7
	v_add_u32_e32 v21, s62, v21
	v_addc_co_u32_e32 v8, vcc, 0, v8, vcc
	v_cmp_le_i32_e32 vcc, s20, v21
	s_or_b64 s[4:5], vcc, s[4:5]
	v_add_co_u32_e32 v9, vcc, s24, v9
	v_addc_co_u32_e32 v10, vcc, 0, v10, vcc
	s_andn2_b64 exec, exec, s[4:5]
	s_cbranch_execz .LBB19_1055
.LBB19_911:                             ; =>This Inner Loop Header: Depth=1
	global_load_dwordx4 v[1:4], v[9:10], off
	s_waitcnt vmcnt(0)
	v_lshlrev_b32_e32 v5, 16, v1
	v_div_scale_f32 v11, s[0:1], s71, s71, v5
	v_div_scale_f32 v12, vcc, v5, s71, v5
	v_rcp_f32_e32 v13, v11
	v_fma_f32 v14, -v11, v13, 1.0
	v_fmac_f32_e32 v13, v14, v13
	v_mul_f32_e32 v14, v12, v13
	v_fma_f32 v15, -v11, v14, v12
	v_fmac_f32_e32 v14, v15, v13
	v_fma_f32 v11, -v11, v14, v12
	v_div_fmas_f32 v11, v11, v13, v14
	v_div_fixup_f32 v14, v11, s71, v5
	v_and_b32_e32 v5, 0x7f800000, v14
	v_cmp_ne_u64_e32 vcc, s[6:7], v[5:6]
                                        ; implicit-def: $vgpr11_vgpr12
	s_and_saveexec_b64 s[0:1], vcc
	s_xor_b64 s[12:13], exec, s[0:1]
	s_cbranch_execz .LBB19_927
; %bb.912:                              ;   in Loop: Header=BB19_911 Depth=1
	v_and_b32_e32 v5, 0x7fffffff, v14
	v_cmp_gt_u64_e32 vcc, s[8:9], v[5:6]
	v_and_b32_sdwa v13, v14, s25 dst_sel:DWORD dst_unused:UNUSED_PAD src0_sel:BYTE_3 src1_sel:DWORD
                                        ; implicit-def: $vgpr11_vgpr12
	s_and_saveexec_b64 s[0:1], vcc
	s_xor_b64 s[14:15], exec, s[0:1]
	s_cbranch_execz .LBB19_924
; %bb.913:                              ;   in Loop: Header=BB19_911 Depth=1
	v_mov_b32_e32 v11, 0
	v_cmp_ne_u32_e32 vcc, 0, v14
	v_mov_b32_e32 v12, 0
	s_and_saveexec_b64 s[16:17], vcc
	s_cbranch_execz .LBB19_923
; %bb.914:                              ;   in Loop: Header=BB19_911 Depth=1
	v_bfe_u32 v16, v14, 23, 8
	v_sub_u32_e32 v11, 0x79, v16
	v_cmp_gt_u32_e32 vcc, s28, v16
	v_cndmask_b32_e32 v11, 0, v11, vcc
	v_cmp_eq_u32_e32 vcc, 0, v16
	v_cndmask_b32_e32 v17, v11, v19, vcc
	v_and_b32_e32 v5, 0x7fffff, v14
	v_add_u32_e32 v11, 20, v17
	v_or_b32_e32 v14, 0x800000, v5
	v_lshlrev_b64 v[11:12], v11, -1
	v_cndmask_b32_e32 v5, v14, v5, vcc
	v_bfi_b32 v14, v11, 0, v5
	v_add_u32_e32 v11, 19, v17
	v_bfi_b32 v15, v12, 0, 0
	v_lshlrev_b64 v[22:23], v11, 1
	v_lshrrev_b64 v[11:12], v17, v[5:6]
	v_cmp_eq_u64_e64 s[0:1], v[14:15], v[22:23]
	v_mov_b32_e32 v15, v12
	v_mov_b32_e32 v14, v11
	s_and_saveexec_b64 s[18:19], s[0:1]
; %bb.915:                              ;   in Loop: Header=BB19_911 Depth=1
	v_bfe_u32 v5, v11, 20, 1
	v_add_co_u32_e64 v5, s[0:1], v11, v5
	v_add_co_u32_e64 v14, s[0:1], -1, v5
; %bb.916:                              ;   in Loop: Header=BB19_911 Depth=1
	s_or_b64 exec, exec, s[18:19]
	v_add_u32_e32 v5, 0xffffff81, v16
	v_cndmask_b32_e32 v5, v5, v20, vcc
	v_lshrrev_b32_e32 v12, 23, v11
	v_add3_u32 v17, v17, v5, v12
	v_add_u32_e32 v15, 6, v17
	v_and_b32_e32 v5, 0xfffff, v14
	v_add_u32_e32 v5, v5, v11
	v_cmp_ne_u32_e32 vcc, 0, v15
                                        ; implicit-def: $vgpr11_vgpr12
                                        ; implicit-def: $vgpr16
	s_and_saveexec_b64 s[0:1], vcc
	s_xor_b64 s[0:1], exec, s[0:1]
; %bb.917:                              ;   in Loop: Header=BB19_911 Depth=1
	v_cmp_lt_u64_e32 vcc, s[10:11], v[5:6]
	v_add_u32_e32 v11, 7, v17
	v_cndmask_b32_e32 v16, v15, v11, vcc
	v_cndmask_b32_e64 v11, 0, 1, vcc
	v_lshrrev_b64 v[11:12], v11, v[5:6]
; %bb.918:                              ;   in Loop: Header=BB19_911 Depth=1
	s_andn2_saveexec_b64 s[0:1], s[0:1]
; %bb.919:                              ;   in Loop: Header=BB19_911 Depth=1
	v_mov_b32_e32 v12, v6
	v_bfe_u32 v16, v5, 23, 1
	v_mov_b32_e32 v11, v5
; %bb.920:                              ;   in Loop: Header=BB19_911 Depth=1
	s_or_b64 exec, exec, s[0:1]
	v_lshrrev_b64 v[11:12], 20, v[11:12]
	v_cmp_gt_i32_e32 vcc, 16, v16
	v_cndmask_b32_e32 v15, 0, v12, vcc
	v_cndmask_b32_e32 v14, 7, v11, vcc
	v_cmp_ne_u64_e32 vcc, 0, v[14:15]
	v_cmp_ne_u32_e64 s[0:1], 0, v16
	s_or_b64 s[0:1], s[0:1], vcc
	v_mov_b32_e32 v11, v13
	v_mov_b32_e32 v12, v14
	s_and_saveexec_b64 s[18:19], s[0:1]
	s_xor_b64 s[0:1], exec, s[18:19]
; %bb.921:                              ;   in Loop: Header=BB19_911 Depth=1
	v_min_i32_e32 v5, 15, v16
	v_lshl_or_b32 v5, v5, 3, v13
	v_and_or_b32 v11, v14, 7, v5
; %bb.922:                              ;   in Loop: Header=BB19_911 Depth=1
	s_andn2_saveexec_b64 s[0:1], s[0:1]
	s_or_b64 exec, exec, s[0:1]
.LBB19_923:                             ;   in Loop: Header=BB19_911 Depth=1
	s_or_b64 exec, exec, s[16:17]
                                        ; implicit-def: $vgpr13
.LBB19_924:                             ;   in Loop: Header=BB19_911 Depth=1
	s_andn2_saveexec_b64 s[0:1], s[14:15]
; %bb.925:                              ;   in Loop: Header=BB19_911 Depth=1
	v_or_b32_e32 v11, 0x7e, v13
; %bb.926:                              ;   in Loop: Header=BB19_911 Depth=1
	s_or_b64 exec, exec, s[0:1]
                                        ; implicit-def: $vgpr14
.LBB19_927:                             ;   in Loop: Header=BB19_911 Depth=1
	s_andn2_saveexec_b64 s[0:1], s[12:13]
; %bb.928:                              ;   in Loop: Header=BB19_911 Depth=1
	v_or_b32_sdwa v11, v14, s29 dst_sel:DWORD dst_unused:UNUSED_PAD src0_sel:BYTE_3 src1_sel:DWORD
; %bb.929:                              ;   in Loop: Header=BB19_911 Depth=1
	s_or_b64 exec, exec, s[0:1]
	v_and_b32_e32 v1, 0xffff0000, v1
	v_div_scale_f32 v5, s[0:1], s71, s71, v1
	v_div_scale_f32 v12, vcc, v1, s71, v1
	v_rcp_f32_e32 v13, v5
	v_fma_f32 v14, -v5, v13, 1.0
	v_fmac_f32_e32 v13, v14, v13
	v_mul_f32_e32 v14, v12, v13
	v_fma_f32 v15, -v5, v14, v12
	v_fmac_f32_e32 v14, v15, v13
	v_fma_f32 v5, -v5, v14, v12
	v_div_fmas_f32 v5, v5, v13, v14
                                        ; implicit-def: $vgpr12_vgpr13
	v_div_fixup_f32 v14, v5, s71, v1
	v_and_b32_e32 v5, 0x7f800000, v14
	v_cmp_ne_u64_e32 vcc, s[6:7], v[5:6]
	s_and_saveexec_b64 s[0:1], vcc
	s_xor_b64 s[12:13], exec, s[0:1]
	s_cbranch_execz .LBB19_945
; %bb.930:                              ;   in Loop: Header=BB19_911 Depth=1
	v_and_b32_e32 v5, 0x7fffffff, v14
	v_cmp_gt_u64_e32 vcc, s[8:9], v[5:6]
	v_and_b32_sdwa v1, v14, s25 dst_sel:DWORD dst_unused:UNUSED_PAD src0_sel:BYTE_3 src1_sel:DWORD
                                        ; implicit-def: $vgpr12_vgpr13
	s_and_saveexec_b64 s[0:1], vcc
	s_xor_b64 s[14:15], exec, s[0:1]
	s_cbranch_execz .LBB19_942
; %bb.931:                              ;   in Loop: Header=BB19_911 Depth=1
	v_mov_b32_e32 v12, 0
	v_cmp_ne_u32_e32 vcc, 0, v14
	v_mov_b32_e32 v13, 0
	s_and_saveexec_b64 s[16:17], vcc
	s_cbranch_execz .LBB19_941
; %bb.932:                              ;   in Loop: Header=BB19_911 Depth=1
	v_bfe_u32 v15, v14, 23, 8
	v_sub_u32_e32 v12, 0x79, v15
	v_cmp_gt_u32_e32 vcc, s28, v15
	v_cndmask_b32_e32 v12, 0, v12, vcc
	v_cmp_eq_u32_e32 vcc, 0, v15
	v_cndmask_b32_e32 v16, v12, v19, vcc
	v_and_b32_e32 v5, 0x7fffff, v14
	v_add_u32_e32 v12, 20, v16
	v_or_b32_e32 v14, 0x800000, v5
	v_lshlrev_b64 v[12:13], v12, -1
	v_cndmask_b32_e32 v5, v14, v5, vcc
	v_bfi_b32 v17, v12, 0, v5
	v_add_u32_e32 v12, 19, v16
	v_bfi_b32 v18, v13, 0, 0
	v_lshlrev_b64 v[22:23], v12, 1
	v_lshrrev_b64 v[12:13], v16, v[5:6]
	v_cmp_eq_u64_e64 s[0:1], v[17:18], v[22:23]
	v_mov_b32_e32 v14, v13
	v_mov_b32_e32 v13, v12
	s_and_saveexec_b64 s[18:19], s[0:1]
; %bb.933:                              ;   in Loop: Header=BB19_911 Depth=1
	v_bfe_u32 v5, v12, 20, 1
	v_add_co_u32_e64 v5, s[0:1], v12, v5
	v_add_co_u32_e64 v13, s[0:1], -1, v5
; %bb.934:                              ;   in Loop: Header=BB19_911 Depth=1
	s_or_b64 exec, exec, s[18:19]
	v_add_u32_e32 v5, 0xffffff81, v15
	v_cndmask_b32_e32 v5, v5, v20, vcc
	v_lshrrev_b32_e32 v14, 23, v12
	v_add3_u32 v15, v16, v5, v14
	v_add_u32_e32 v14, 6, v15
	v_and_b32_e32 v5, 0xfffff, v13
	v_add_u32_e32 v5, v5, v12
	v_cmp_ne_u32_e32 vcc, 0, v14
                                        ; implicit-def: $vgpr12_vgpr13
                                        ; implicit-def: $vgpr16
	s_and_saveexec_b64 s[0:1], vcc
	s_xor_b64 s[0:1], exec, s[0:1]
; %bb.935:                              ;   in Loop: Header=BB19_911 Depth=1
	v_cmp_lt_u64_e32 vcc, s[10:11], v[5:6]
	v_add_u32_e32 v12, 7, v15
	v_cndmask_b32_e32 v16, v14, v12, vcc
	v_cndmask_b32_e64 v12, 0, 1, vcc
	v_lshrrev_b64 v[12:13], v12, v[5:6]
; %bb.936:                              ;   in Loop: Header=BB19_911 Depth=1
	s_andn2_saveexec_b64 s[0:1], s[0:1]
; %bb.937:                              ;   in Loop: Header=BB19_911 Depth=1
	v_mov_b32_e32 v13, v6
	v_bfe_u32 v16, v5, 23, 1
	v_mov_b32_e32 v12, v5
; %bb.938:                              ;   in Loop: Header=BB19_911 Depth=1
	s_or_b64 exec, exec, s[0:1]
	v_lshrrev_b64 v[12:13], 20, v[12:13]
	v_cmp_gt_i32_e32 vcc, 16, v16
	v_cndmask_b32_e32 v15, 0, v13, vcc
	v_cndmask_b32_e32 v14, 7, v12, vcc
	v_cmp_ne_u64_e32 vcc, 0, v[14:15]
	v_cmp_ne_u32_e64 s[0:1], 0, v16
	v_mov_b32_e32 v13, v2
	s_or_b64 s[0:1], s[0:1], vcc
	v_mov_b32_e32 v12, v1
	s_and_saveexec_b64 s[18:19], s[0:1]
	s_xor_b64 s[0:1], exec, s[18:19]
; %bb.939:                              ;   in Loop: Header=BB19_911 Depth=1
	v_min_i32_e32 v5, 15, v16
	v_lshl_or_b32 v1, v5, 3, v1
	v_and_or_b32 v12, v14, 7, v1
; %bb.940:                              ;   in Loop: Header=BB19_911 Depth=1
	s_andn2_saveexec_b64 s[0:1], s[0:1]
	s_or_b64 exec, exec, s[0:1]
.LBB19_941:                             ;   in Loop: Header=BB19_911 Depth=1
	s_or_b64 exec, exec, s[16:17]
                                        ; implicit-def: $vgpr1
.LBB19_942:                             ;   in Loop: Header=BB19_911 Depth=1
	s_andn2_saveexec_b64 s[0:1], s[14:15]
; %bb.943:                              ;   in Loop: Header=BB19_911 Depth=1
	v_or_b32_e32 v12, 0x7e, v1
; %bb.944:                              ;   in Loop: Header=BB19_911 Depth=1
	s_or_b64 exec, exec, s[0:1]
                                        ; implicit-def: $vgpr14
.LBB19_945:                             ;   in Loop: Header=BB19_911 Depth=1
	s_andn2_saveexec_b64 s[0:1], s[12:13]
; %bb.946:                              ;   in Loop: Header=BB19_911 Depth=1
	v_or_b32_sdwa v12, v14, s29 dst_sel:DWORD dst_unused:UNUSED_PAD src0_sel:BYTE_3 src1_sel:DWORD
; %bb.947:                              ;   in Loop: Header=BB19_911 Depth=1
	s_or_b64 exec, exec, s[0:1]
	v_lshlrev_b32_e32 v1, 16, v2
	v_div_scale_f32 v5, s[0:1], s71, s71, v1
	v_div_scale_f32 v13, vcc, v1, s71, v1
	v_rcp_f32_e32 v14, v5
	v_fma_f32 v15, -v5, v14, 1.0
	v_fmac_f32_e32 v14, v15, v14
	v_mul_f32_e32 v15, v13, v14
	v_fma_f32 v16, -v5, v15, v13
	v_fmac_f32_e32 v15, v16, v14
	v_fma_f32 v5, -v5, v15, v13
	v_div_fmas_f32 v5, v5, v14, v15
                                        ; implicit-def: $vgpr13_vgpr14
	v_div_fixup_f32 v15, v5, s71, v1
	v_and_b32_e32 v5, 0x7f800000, v15
	v_cmp_ne_u64_e32 vcc, s[6:7], v[5:6]
	s_and_saveexec_b64 s[0:1], vcc
	s_xor_b64 s[12:13], exec, s[0:1]
	s_cbranch_execz .LBB19_963
; %bb.948:                              ;   in Loop: Header=BB19_911 Depth=1
	v_and_b32_e32 v5, 0x7fffffff, v15
	v_cmp_gt_u64_e32 vcc, s[8:9], v[5:6]
	v_and_b32_sdwa v1, v15, s25 dst_sel:DWORD dst_unused:UNUSED_PAD src0_sel:BYTE_3 src1_sel:DWORD
                                        ; implicit-def: $vgpr13_vgpr14
	s_and_saveexec_b64 s[0:1], vcc
	s_xor_b64 s[14:15], exec, s[0:1]
	s_cbranch_execz .LBB19_960
; %bb.949:                              ;   in Loop: Header=BB19_911 Depth=1
	v_mov_b32_e32 v13, 0
	v_cmp_ne_u32_e32 vcc, 0, v15
	v_mov_b32_e32 v14, 0
	s_and_saveexec_b64 s[16:17], vcc
	s_cbranch_execz .LBB19_959
; %bb.950:                              ;   in Loop: Header=BB19_911 Depth=1
	v_bfe_u32 v16, v15, 23, 8
	v_sub_u32_e32 v13, 0x79, v16
	v_cmp_gt_u32_e32 vcc, s28, v16
	v_cndmask_b32_e32 v13, 0, v13, vcc
	v_cmp_eq_u32_e32 vcc, 0, v16
	v_cndmask_b32_e32 v17, v13, v19, vcc
	v_and_b32_e32 v5, 0x7fffff, v15
	v_add_u32_e32 v13, 20, v17
	v_or_b32_e32 v15, 0x800000, v5
	v_lshlrev_b64 v[13:14], v13, -1
	v_cndmask_b32_e32 v5, v15, v5, vcc
	v_bfi_b32 v22, v13, 0, v5
	v_add_u32_e32 v13, 19, v17
	v_bfi_b32 v23, v14, 0, 0
	v_lshlrev_b64 v[24:25], v13, 1
	v_lshrrev_b64 v[13:14], v17, v[5:6]
	v_cmp_eq_u64_e64 s[0:1], v[22:23], v[24:25]
	v_mov_b32_e32 v15, v14
	v_mov_b32_e32 v14, v13
	s_and_saveexec_b64 s[18:19], s[0:1]
; %bb.951:                              ;   in Loop: Header=BB19_911 Depth=1
	v_bfe_u32 v5, v13, 20, 1
	v_add_co_u32_e64 v5, s[0:1], v13, v5
	v_add_co_u32_e64 v14, s[0:1], -1, v5
; %bb.952:                              ;   in Loop: Header=BB19_911 Depth=1
	s_or_b64 exec, exec, s[18:19]
	v_add_u32_e32 v5, 0xffffff81, v16
	v_cndmask_b32_e32 v5, v5, v20, vcc
	v_lshrrev_b32_e32 v15, 23, v13
	v_add3_u32 v16, v17, v5, v15
	v_add_u32_e32 v15, 6, v16
	v_and_b32_e32 v5, 0xfffff, v14
	v_add_u32_e32 v5, v5, v13
	v_cmp_ne_u32_e32 vcc, 0, v15
                                        ; implicit-def: $vgpr13_vgpr14
                                        ; implicit-def: $vgpr17
	s_and_saveexec_b64 s[0:1], vcc
	s_xor_b64 s[0:1], exec, s[0:1]
; %bb.953:                              ;   in Loop: Header=BB19_911 Depth=1
	v_cmp_lt_u64_e32 vcc, s[10:11], v[5:6]
	v_add_u32_e32 v13, 7, v16
	v_cndmask_b32_e32 v17, v15, v13, vcc
	v_cndmask_b32_e64 v13, 0, 1, vcc
	v_lshrrev_b64 v[13:14], v13, v[5:6]
; %bb.954:                              ;   in Loop: Header=BB19_911 Depth=1
	s_andn2_saveexec_b64 s[0:1], s[0:1]
; %bb.955:                              ;   in Loop: Header=BB19_911 Depth=1
	v_mov_b32_e32 v14, v6
	v_bfe_u32 v17, v5, 23, 1
	v_mov_b32_e32 v13, v5
; %bb.956:                              ;   in Loop: Header=BB19_911 Depth=1
	s_or_b64 exec, exec, s[0:1]
	v_lshrrev_b64 v[13:14], 20, v[13:14]
	v_cmp_gt_i32_e32 vcc, 16, v17
	v_cndmask_b32_e32 v16, 0, v14, vcc
	v_cndmask_b32_e32 v15, 7, v13, vcc
	v_cmp_ne_u64_e32 vcc, 0, v[15:16]
	v_cmp_ne_u32_e64 s[0:1], 0, v17
	v_mov_b32_e32 v14, v2
	s_or_b64 s[0:1], s[0:1], vcc
	v_mov_b32_e32 v13, v1
	s_and_saveexec_b64 s[18:19], s[0:1]
	s_xor_b64 s[0:1], exec, s[18:19]
; %bb.957:                              ;   in Loop: Header=BB19_911 Depth=1
	v_min_i32_e32 v5, 15, v17
	v_lshl_or_b32 v1, v5, 3, v1
	v_and_or_b32 v13, v15, 7, v1
; %bb.958:                              ;   in Loop: Header=BB19_911 Depth=1
	s_andn2_saveexec_b64 s[0:1], s[0:1]
	s_or_b64 exec, exec, s[0:1]
.LBB19_959:                             ;   in Loop: Header=BB19_911 Depth=1
	s_or_b64 exec, exec, s[16:17]
                                        ; implicit-def: $vgpr1
.LBB19_960:                             ;   in Loop: Header=BB19_911 Depth=1
	s_andn2_saveexec_b64 s[0:1], s[14:15]
; %bb.961:                              ;   in Loop: Header=BB19_911 Depth=1
	v_or_b32_e32 v13, 0x7e, v1
; %bb.962:                              ;   in Loop: Header=BB19_911 Depth=1
	s_or_b64 exec, exec, s[0:1]
                                        ; implicit-def: $vgpr15
.LBB19_963:                             ;   in Loop: Header=BB19_911 Depth=1
	s_andn2_saveexec_b64 s[0:1], s[12:13]
; %bb.964:                              ;   in Loop: Header=BB19_911 Depth=1
	v_or_b32_sdwa v13, v15, s29 dst_sel:DWORD dst_unused:UNUSED_PAD src0_sel:BYTE_3 src1_sel:DWORD
; %bb.965:                              ;   in Loop: Header=BB19_911 Depth=1
	s_or_b64 exec, exec, s[0:1]
	v_and_b32_e32 v1, 0xffff0000, v2
	v_div_scale_f32 v2, s[0:1], s71, s71, v1
	v_div_scale_f32 v5, vcc, v1, s71, v1
	v_rcp_f32_e32 v14, v2
	v_fma_f32 v15, -v2, v14, 1.0
	v_fmac_f32_e32 v14, v15, v14
	v_mul_f32_e32 v15, v5, v14
	v_fma_f32 v16, -v2, v15, v5
	v_fmac_f32_e32 v15, v16, v14
	v_fma_f32 v2, -v2, v15, v5
	v_div_fmas_f32 v2, v2, v14, v15
	v_div_fixup_f32 v15, v2, s71, v1
	v_and_b32_e32 v5, 0x7f800000, v15
	v_cmp_ne_u64_e32 vcc, s[6:7], v[5:6]
                                        ; implicit-def: $vgpr1_vgpr2
	s_and_saveexec_b64 s[0:1], vcc
	s_xor_b64 s[12:13], exec, s[0:1]
	s_cbranch_execz .LBB19_981
; %bb.966:                              ;   in Loop: Header=BB19_911 Depth=1
	v_and_b32_e32 v5, 0x7fffffff, v15
	v_cmp_gt_u64_e32 vcc, s[8:9], v[5:6]
	v_and_b32_sdwa v14, v15, s25 dst_sel:DWORD dst_unused:UNUSED_PAD src0_sel:BYTE_3 src1_sel:DWORD
                                        ; implicit-def: $vgpr1_vgpr2
	s_and_saveexec_b64 s[0:1], vcc
	s_xor_b64 s[14:15], exec, s[0:1]
	s_cbranch_execz .LBB19_978
; %bb.967:                              ;   in Loop: Header=BB19_911 Depth=1
	v_mov_b32_e32 v1, 0
	v_cmp_ne_u32_e32 vcc, 0, v15
	v_mov_b32_e32 v2, 0
	s_and_saveexec_b64 s[16:17], vcc
	s_cbranch_execz .LBB19_977
; %bb.968:                              ;   in Loop: Header=BB19_911 Depth=1
	v_bfe_u32 v17, v15, 23, 8
	v_sub_u32_e32 v1, 0x79, v17
	v_cmp_gt_u32_e32 vcc, s28, v17
	v_cndmask_b32_e32 v1, 0, v1, vcc
	v_cmp_eq_u32_e32 vcc, 0, v17
	v_cndmask_b32_e32 v18, v1, v19, vcc
	v_and_b32_e32 v5, 0x7fffff, v15
	v_add_u32_e32 v1, 20, v18
	v_or_b32_e32 v15, 0x800000, v5
	v_lshlrev_b64 v[1:2], v1, -1
	v_cndmask_b32_e32 v5, v15, v5, vcc
	v_bfi_b32 v15, v1, 0, v5
	v_add_u32_e32 v1, 19, v18
	v_bfi_b32 v16, v2, 0, 0
	v_lshlrev_b64 v[22:23], v1, 1
	v_lshrrev_b64 v[1:2], v18, v[5:6]
	v_cmp_eq_u64_e64 s[0:1], v[15:16], v[22:23]
	v_mov_b32_e32 v16, v2
	v_mov_b32_e32 v15, v1
	s_and_saveexec_b64 s[18:19], s[0:1]
; %bb.969:                              ;   in Loop: Header=BB19_911 Depth=1
	v_bfe_u32 v2, v1, 20, 1
	v_add_co_u32_e64 v2, s[0:1], v1, v2
	v_add_co_u32_e64 v15, s[0:1], -1, v2
; %bb.970:                              ;   in Loop: Header=BB19_911 Depth=1
	s_or_b64 exec, exec, s[18:19]
	v_add_u32_e32 v2, 0xffffff81, v17
	v_cndmask_b32_e32 v2, v2, v20, vcc
	v_lshrrev_b32_e32 v5, 23, v1
	v_add3_u32 v18, v18, v2, v5
	v_add_u32_e32 v16, 6, v18
	v_and_b32_e32 v2, 0xfffff, v15
	v_add_u32_e32 v5, v2, v1
	v_cmp_ne_u32_e32 vcc, 0, v16
                                        ; implicit-def: $vgpr1_vgpr2
                                        ; implicit-def: $vgpr17
	s_and_saveexec_b64 s[0:1], vcc
	s_xor_b64 s[0:1], exec, s[0:1]
; %bb.971:                              ;   in Loop: Header=BB19_911 Depth=1
	v_cmp_lt_u64_e32 vcc, s[10:11], v[5:6]
	v_add_u32_e32 v1, 7, v18
	v_cndmask_b32_e32 v17, v16, v1, vcc
	v_cndmask_b32_e64 v1, 0, 1, vcc
	v_lshrrev_b64 v[1:2], v1, v[5:6]
; %bb.972:                              ;   in Loop: Header=BB19_911 Depth=1
	s_andn2_saveexec_b64 s[0:1], s[0:1]
; %bb.973:                              ;   in Loop: Header=BB19_911 Depth=1
	v_mov_b32_e32 v1, v5
	v_bfe_u32 v17, v5, 23, 1
	v_mov_b32_e32 v2, v6
; %bb.974:                              ;   in Loop: Header=BB19_911 Depth=1
	s_or_b64 exec, exec, s[0:1]
	v_lshrrev_b64 v[1:2], 20, v[1:2]
	v_cmp_gt_i32_e32 vcc, 16, v17
	v_cndmask_b32_e32 v16, 0, v2, vcc
	v_cndmask_b32_e32 v15, 7, v1, vcc
	v_cmp_ne_u64_e32 vcc, 0, v[15:16]
	v_cmp_ne_u32_e64 s[0:1], 0, v17
	s_or_b64 s[0:1], s[0:1], vcc
	v_mov_b32_e32 v1, v14
	v_mov_b32_e32 v2, v15
	s_and_saveexec_b64 s[18:19], s[0:1]
	s_xor_b64 s[0:1], exec, s[18:19]
; %bb.975:                              ;   in Loop: Header=BB19_911 Depth=1
	v_min_i32_e32 v1, 15, v17
	v_lshl_or_b32 v1, v1, 3, v14
	v_and_or_b32 v1, v15, 7, v1
; %bb.976:                              ;   in Loop: Header=BB19_911 Depth=1
	s_andn2_saveexec_b64 s[0:1], s[0:1]
	s_or_b64 exec, exec, s[0:1]
.LBB19_977:                             ;   in Loop: Header=BB19_911 Depth=1
	s_or_b64 exec, exec, s[16:17]
                                        ; implicit-def: $vgpr14
.LBB19_978:                             ;   in Loop: Header=BB19_911 Depth=1
	s_andn2_saveexec_b64 s[0:1], s[14:15]
; %bb.979:                              ;   in Loop: Header=BB19_911 Depth=1
	v_or_b32_e32 v1, 0x7e, v14
; %bb.980:                              ;   in Loop: Header=BB19_911 Depth=1
	s_or_b64 exec, exec, s[0:1]
                                        ; implicit-def: $vgpr15
.LBB19_981:                             ;   in Loop: Header=BB19_911 Depth=1
	s_andn2_saveexec_b64 s[0:1], s[12:13]
; %bb.982:                              ;   in Loop: Header=BB19_911 Depth=1
	v_or_b32_sdwa v1, v15, s29 dst_sel:DWORD dst_unused:UNUSED_PAD src0_sel:BYTE_3 src1_sel:DWORD
; %bb.983:                              ;   in Loop: Header=BB19_911 Depth=1
	s_or_b64 exec, exec, s[0:1]
	v_lshlrev_b32_e32 v2, 16, v3
	v_div_scale_f32 v5, s[0:1], s71, s71, v2
	v_div_scale_f32 v14, vcc, v2, s71, v2
	v_rcp_f32_e32 v15, v5
	v_fma_f32 v16, -v5, v15, 1.0
	v_fmac_f32_e32 v15, v16, v15
	v_mul_f32_e32 v16, v14, v15
	v_fma_f32 v17, -v5, v16, v14
	v_fmac_f32_e32 v16, v17, v15
	v_fma_f32 v5, -v5, v16, v14
	v_div_fmas_f32 v5, v5, v15, v16
                                        ; implicit-def: $vgpr14_vgpr15
	v_div_fixup_f32 v16, v5, s71, v2
	v_and_b32_e32 v5, 0x7f800000, v16
	v_cmp_ne_u64_e32 vcc, s[6:7], v[5:6]
	s_and_saveexec_b64 s[0:1], vcc
	s_xor_b64 s[12:13], exec, s[0:1]
	s_cbranch_execz .LBB19_999
; %bb.984:                              ;   in Loop: Header=BB19_911 Depth=1
	v_and_b32_e32 v5, 0x7fffffff, v16
	v_cmp_gt_u64_e32 vcc, s[8:9], v[5:6]
	v_and_b32_sdwa v2, v16, s25 dst_sel:DWORD dst_unused:UNUSED_PAD src0_sel:BYTE_3 src1_sel:DWORD
                                        ; implicit-def: $vgpr14_vgpr15
	s_and_saveexec_b64 s[0:1], vcc
	s_xor_b64 s[14:15], exec, s[0:1]
	s_cbranch_execz .LBB19_996
; %bb.985:                              ;   in Loop: Header=BB19_911 Depth=1
	v_mov_b32_e32 v14, 0
	v_cmp_ne_u32_e32 vcc, 0, v16
	v_mov_b32_e32 v15, 0
	s_and_saveexec_b64 s[16:17], vcc
	s_cbranch_execz .LBB19_995
; %bb.986:                              ;   in Loop: Header=BB19_911 Depth=1
	v_bfe_u32 v17, v16, 23, 8
	v_sub_u32_e32 v14, 0x79, v17
	v_cmp_gt_u32_e32 vcc, s28, v17
	v_cndmask_b32_e32 v14, 0, v14, vcc
	v_cmp_eq_u32_e32 vcc, 0, v17
	v_cndmask_b32_e32 v18, v14, v19, vcc
	v_and_b32_e32 v5, 0x7fffff, v16
	v_add_u32_e32 v14, 20, v18
	v_or_b32_e32 v16, 0x800000, v5
	v_lshlrev_b64 v[14:15], v14, -1
	v_cndmask_b32_e32 v5, v16, v5, vcc
	v_bfi_b32 v22, v14, 0, v5
	v_add_u32_e32 v14, 19, v18
	v_bfi_b32 v23, v15, 0, 0
	v_lshlrev_b64 v[24:25], v14, 1
	v_lshrrev_b64 v[14:15], v18, v[5:6]
	v_cmp_eq_u64_e64 s[0:1], v[22:23], v[24:25]
	v_mov_b32_e32 v16, v15
	v_mov_b32_e32 v15, v14
	s_and_saveexec_b64 s[18:19], s[0:1]
; %bb.987:                              ;   in Loop: Header=BB19_911 Depth=1
	v_bfe_u32 v5, v14, 20, 1
	v_add_co_u32_e64 v5, s[0:1], v14, v5
	v_add_co_u32_e64 v15, s[0:1], -1, v5
; %bb.988:                              ;   in Loop: Header=BB19_911 Depth=1
	s_or_b64 exec, exec, s[18:19]
	v_add_u32_e32 v5, 0xffffff81, v17
	v_cndmask_b32_e32 v5, v5, v20, vcc
	v_lshrrev_b32_e32 v16, 23, v14
	v_add3_u32 v17, v18, v5, v16
	v_add_u32_e32 v16, 6, v17
	v_and_b32_e32 v5, 0xfffff, v15
	v_add_u32_e32 v5, v5, v14
	v_cmp_ne_u32_e32 vcc, 0, v16
                                        ; implicit-def: $vgpr14_vgpr15
                                        ; implicit-def: $vgpr18
	s_and_saveexec_b64 s[0:1], vcc
	s_xor_b64 s[0:1], exec, s[0:1]
; %bb.989:                              ;   in Loop: Header=BB19_911 Depth=1
	v_cmp_lt_u64_e32 vcc, s[10:11], v[5:6]
	v_add_u32_e32 v14, 7, v17
	v_cndmask_b32_e32 v18, v16, v14, vcc
	v_cndmask_b32_e64 v14, 0, 1, vcc
	v_lshrrev_b64 v[14:15], v14, v[5:6]
; %bb.990:                              ;   in Loop: Header=BB19_911 Depth=1
	s_andn2_saveexec_b64 s[0:1], s[0:1]
; %bb.991:                              ;   in Loop: Header=BB19_911 Depth=1
	v_mov_b32_e32 v15, v6
	v_bfe_u32 v18, v5, 23, 1
	v_mov_b32_e32 v14, v5
; %bb.992:                              ;   in Loop: Header=BB19_911 Depth=1
	s_or_b64 exec, exec, s[0:1]
	v_lshrrev_b64 v[14:15], 20, v[14:15]
	v_cmp_gt_i32_e32 vcc, 16, v18
	v_cndmask_b32_e32 v17, 0, v15, vcc
	v_cndmask_b32_e32 v16, 7, v14, vcc
	v_cmp_ne_u64_e32 vcc, 0, v[16:17]
	v_cmp_ne_u32_e64 s[0:1], 0, v18
	v_mov_b32_e32 v15, v3
	s_or_b64 s[0:1], s[0:1], vcc
	v_mov_b32_e32 v14, v2
	s_and_saveexec_b64 s[18:19], s[0:1]
	s_xor_b64 s[0:1], exec, s[18:19]
; %bb.993:                              ;   in Loop: Header=BB19_911 Depth=1
	v_min_i32_e32 v5, 15, v18
	v_lshl_or_b32 v2, v5, 3, v2
	v_and_or_b32 v14, v16, 7, v2
; %bb.994:                              ;   in Loop: Header=BB19_911 Depth=1
	s_andn2_saveexec_b64 s[0:1], s[0:1]
	s_or_b64 exec, exec, s[0:1]
.LBB19_995:                             ;   in Loop: Header=BB19_911 Depth=1
	s_or_b64 exec, exec, s[16:17]
                                        ; implicit-def: $vgpr2
.LBB19_996:                             ;   in Loop: Header=BB19_911 Depth=1
	s_andn2_saveexec_b64 s[0:1], s[14:15]
; %bb.997:                              ;   in Loop: Header=BB19_911 Depth=1
	v_or_b32_e32 v14, 0x7e, v2
; %bb.998:                              ;   in Loop: Header=BB19_911 Depth=1
	s_or_b64 exec, exec, s[0:1]
                                        ; implicit-def: $vgpr16
.LBB19_999:                             ;   in Loop: Header=BB19_911 Depth=1
	s_andn2_saveexec_b64 s[0:1], s[12:13]
; %bb.1000:                             ;   in Loop: Header=BB19_911 Depth=1
	v_or_b32_sdwa v14, v16, s29 dst_sel:DWORD dst_unused:UNUSED_PAD src0_sel:BYTE_3 src1_sel:DWORD
; %bb.1001:                             ;   in Loop: Header=BB19_911 Depth=1
	s_or_b64 exec, exec, s[0:1]
	v_and_b32_e32 v2, 0xffff0000, v3
	v_div_scale_f32 v3, s[0:1], s71, s71, v2
	v_div_scale_f32 v5, vcc, v2, s71, v2
	v_rcp_f32_e32 v15, v3
	v_fma_f32 v16, -v3, v15, 1.0
	v_fmac_f32_e32 v15, v16, v15
	v_mul_f32_e32 v16, v5, v15
	v_fma_f32 v17, -v3, v16, v5
	v_fmac_f32_e32 v16, v17, v15
	v_fma_f32 v3, -v3, v16, v5
	v_div_fmas_f32 v3, v3, v15, v16
	v_div_fixup_f32 v16, v3, s71, v2
	v_and_b32_e32 v5, 0x7f800000, v16
	v_cmp_ne_u64_e32 vcc, s[6:7], v[5:6]
                                        ; implicit-def: $vgpr2_vgpr3
	s_and_saveexec_b64 s[0:1], vcc
	s_xor_b64 s[12:13], exec, s[0:1]
	s_cbranch_execz .LBB19_1017
; %bb.1002:                             ;   in Loop: Header=BB19_911 Depth=1
	v_and_b32_e32 v5, 0x7fffffff, v16
	v_cmp_gt_u64_e32 vcc, s[8:9], v[5:6]
	v_and_b32_sdwa v15, v16, s25 dst_sel:DWORD dst_unused:UNUSED_PAD src0_sel:BYTE_3 src1_sel:DWORD
                                        ; implicit-def: $vgpr2_vgpr3
	s_and_saveexec_b64 s[0:1], vcc
	s_xor_b64 s[14:15], exec, s[0:1]
	s_cbranch_execz .LBB19_1014
; %bb.1003:                             ;   in Loop: Header=BB19_911 Depth=1
	v_mov_b32_e32 v2, 0
	v_cmp_ne_u32_e32 vcc, 0, v16
	v_mov_b32_e32 v3, 0
	s_and_saveexec_b64 s[16:17], vcc
	s_cbranch_execz .LBB19_1013
; %bb.1004:                             ;   in Loop: Header=BB19_911 Depth=1
	v_bfe_u32 v18, v16, 23, 8
	v_sub_u32_e32 v2, 0x79, v18
	v_cmp_gt_u32_e32 vcc, s28, v18
	v_cndmask_b32_e32 v2, 0, v2, vcc
	v_cmp_eq_u32_e32 vcc, 0, v18
	v_cndmask_b32_e32 v22, v2, v19, vcc
	v_and_b32_e32 v5, 0x7fffff, v16
	v_add_u32_e32 v2, 20, v22
	v_or_b32_e32 v16, 0x800000, v5
	v_lshlrev_b64 v[2:3], v2, -1
	v_cndmask_b32_e32 v5, v16, v5, vcc
	v_bfi_b32 v16, v2, 0, v5
	v_add_u32_e32 v2, 19, v22
	v_bfi_b32 v17, v3, 0, 0
	v_lshlrev_b64 v[23:24], v2, 1
	v_lshrrev_b64 v[2:3], v22, v[5:6]
	v_cmp_eq_u64_e64 s[0:1], v[16:17], v[23:24]
	v_mov_b32_e32 v17, v3
	v_mov_b32_e32 v16, v2
	s_and_saveexec_b64 s[18:19], s[0:1]
; %bb.1005:                             ;   in Loop: Header=BB19_911 Depth=1
	v_bfe_u32 v3, v2, 20, 1
	v_add_co_u32_e64 v3, s[0:1], v2, v3
	v_add_co_u32_e64 v16, s[0:1], -1, v3
; %bb.1006:                             ;   in Loop: Header=BB19_911 Depth=1
	s_or_b64 exec, exec, s[18:19]
	v_add_u32_e32 v3, 0xffffff81, v18
	v_cndmask_b32_e32 v3, v3, v20, vcc
	v_lshrrev_b32_e32 v5, 23, v2
	v_add3_u32 v22, v22, v3, v5
	v_add_u32_e32 v17, 6, v22
	v_and_b32_e32 v3, 0xfffff, v16
	v_add_u32_e32 v5, v3, v2
	v_cmp_ne_u32_e32 vcc, 0, v17
                                        ; implicit-def: $vgpr2_vgpr3
                                        ; implicit-def: $vgpr18
	s_and_saveexec_b64 s[0:1], vcc
	s_xor_b64 s[0:1], exec, s[0:1]
; %bb.1007:                             ;   in Loop: Header=BB19_911 Depth=1
	v_cmp_lt_u64_e32 vcc, s[10:11], v[5:6]
	v_add_u32_e32 v2, 7, v22
	v_cndmask_b32_e32 v18, v17, v2, vcc
	v_cndmask_b32_e64 v2, 0, 1, vcc
	v_lshrrev_b64 v[2:3], v2, v[5:6]
; %bb.1008:                             ;   in Loop: Header=BB19_911 Depth=1
	s_andn2_saveexec_b64 s[0:1], s[0:1]
; %bb.1009:                             ;   in Loop: Header=BB19_911 Depth=1
	v_mov_b32_e32 v2, v5
	v_bfe_u32 v18, v5, 23, 1
	v_mov_b32_e32 v3, v6
; %bb.1010:                             ;   in Loop: Header=BB19_911 Depth=1
	s_or_b64 exec, exec, s[0:1]
	v_lshrrev_b64 v[2:3], 20, v[2:3]
	v_cmp_gt_i32_e32 vcc, 16, v18
	v_cndmask_b32_e32 v17, 0, v3, vcc
	v_cndmask_b32_e32 v16, 7, v2, vcc
	v_cmp_ne_u64_e32 vcc, 0, v[16:17]
	v_cmp_ne_u32_e64 s[0:1], 0, v18
	s_or_b64 s[0:1], s[0:1], vcc
	v_mov_b32_e32 v2, v15
	v_mov_b32_e32 v3, v16
	s_and_saveexec_b64 s[18:19], s[0:1]
	s_xor_b64 s[0:1], exec, s[18:19]
; %bb.1011:                             ;   in Loop: Header=BB19_911 Depth=1
	v_min_i32_e32 v2, 15, v18
	v_lshl_or_b32 v2, v2, 3, v15
	v_and_or_b32 v2, v16, 7, v2
; %bb.1012:                             ;   in Loop: Header=BB19_911 Depth=1
	s_andn2_saveexec_b64 s[0:1], s[0:1]
	s_or_b64 exec, exec, s[0:1]
.LBB19_1013:                            ;   in Loop: Header=BB19_911 Depth=1
	s_or_b64 exec, exec, s[16:17]
                                        ; implicit-def: $vgpr15
.LBB19_1014:                            ;   in Loop: Header=BB19_911 Depth=1
	s_andn2_saveexec_b64 s[0:1], s[14:15]
; %bb.1015:                             ;   in Loop: Header=BB19_911 Depth=1
	v_or_b32_e32 v2, 0x7e, v15
; %bb.1016:                             ;   in Loop: Header=BB19_911 Depth=1
	s_or_b64 exec, exec, s[0:1]
                                        ; implicit-def: $vgpr16
.LBB19_1017:                            ;   in Loop: Header=BB19_911 Depth=1
	s_andn2_saveexec_b64 s[0:1], s[12:13]
; %bb.1018:                             ;   in Loop: Header=BB19_911 Depth=1
	v_or_b32_sdwa v2, v16, s29 dst_sel:DWORD dst_unused:UNUSED_PAD src0_sel:BYTE_3 src1_sel:DWORD
; %bb.1019:                             ;   in Loop: Header=BB19_911 Depth=1
	s_or_b64 exec, exec, s[0:1]
	v_lshlrev_b32_e32 v3, 16, v4
	v_div_scale_f32 v5, s[0:1], s71, s71, v3
	v_div_scale_f32 v15, vcc, v3, s71, v3
	v_rcp_f32_e32 v16, v5
	v_fma_f32 v17, -v5, v16, 1.0
	v_fmac_f32_e32 v16, v17, v16
	v_mul_f32_e32 v17, v15, v16
	v_fma_f32 v18, -v5, v17, v15
	v_fmac_f32_e32 v17, v18, v16
	v_fma_f32 v5, -v5, v17, v15
	v_div_fmas_f32 v5, v5, v16, v17
                                        ; implicit-def: $vgpr15_vgpr16
	v_div_fixup_f32 v17, v5, s71, v3
	v_and_b32_e32 v5, 0x7f800000, v17
	v_cmp_ne_u64_e32 vcc, s[6:7], v[5:6]
	s_and_saveexec_b64 s[0:1], vcc
	s_xor_b64 s[12:13], exec, s[0:1]
	s_cbranch_execz .LBB19_1035
; %bb.1020:                             ;   in Loop: Header=BB19_911 Depth=1
	v_and_b32_e32 v5, 0x7fffffff, v17
	v_cmp_gt_u64_e32 vcc, s[8:9], v[5:6]
	v_and_b32_sdwa v3, v17, s25 dst_sel:DWORD dst_unused:UNUSED_PAD src0_sel:BYTE_3 src1_sel:DWORD
                                        ; implicit-def: $vgpr15_vgpr16
	s_and_saveexec_b64 s[0:1], vcc
	s_xor_b64 s[14:15], exec, s[0:1]
	s_cbranch_execz .LBB19_1032
; %bb.1021:                             ;   in Loop: Header=BB19_911 Depth=1
	v_mov_b32_e32 v15, 0
	v_cmp_ne_u32_e32 vcc, 0, v17
	v_mov_b32_e32 v16, 0
	s_and_saveexec_b64 s[16:17], vcc
	s_cbranch_execz .LBB19_1031
; %bb.1022:                             ;   in Loop: Header=BB19_911 Depth=1
	v_bfe_u32 v18, v17, 23, 8
	v_sub_u32_e32 v15, 0x79, v18
	v_cmp_gt_u32_e32 vcc, s28, v18
	v_cndmask_b32_e32 v15, 0, v15, vcc
	v_cmp_eq_u32_e32 vcc, 0, v18
	v_cndmask_b32_e32 v22, v15, v19, vcc
	v_and_b32_e32 v5, 0x7fffff, v17
	v_add_u32_e32 v15, 20, v22
	v_or_b32_e32 v17, 0x800000, v5
	v_lshlrev_b64 v[15:16], v15, -1
	v_cndmask_b32_e32 v5, v17, v5, vcc
	v_bfi_b32 v23, v15, 0, v5
	v_add_u32_e32 v15, 19, v22
	v_bfi_b32 v24, v16, 0, 0
	v_lshlrev_b64 v[25:26], v15, 1
	v_lshrrev_b64 v[15:16], v22, v[5:6]
	v_cmp_eq_u64_e64 s[0:1], v[23:24], v[25:26]
	v_mov_b32_e32 v17, v16
	v_mov_b32_e32 v16, v15
	s_and_saveexec_b64 s[18:19], s[0:1]
; %bb.1023:                             ;   in Loop: Header=BB19_911 Depth=1
	v_bfe_u32 v5, v15, 20, 1
	v_add_co_u32_e64 v5, s[0:1], v15, v5
	v_add_co_u32_e64 v16, s[0:1], -1, v5
; %bb.1024:                             ;   in Loop: Header=BB19_911 Depth=1
	s_or_b64 exec, exec, s[18:19]
	v_add_u32_e32 v5, 0xffffff81, v18
	v_cndmask_b32_e32 v5, v5, v20, vcc
	v_lshrrev_b32_e32 v17, 23, v15
	v_add3_u32 v18, v22, v5, v17
	v_add_u32_e32 v17, 6, v18
	v_and_b32_e32 v5, 0xfffff, v16
	v_add_u32_e32 v5, v5, v15
	v_cmp_ne_u32_e32 vcc, 0, v17
                                        ; implicit-def: $vgpr15_vgpr16
                                        ; implicit-def: $vgpr22
	s_and_saveexec_b64 s[0:1], vcc
	s_xor_b64 s[0:1], exec, s[0:1]
; %bb.1025:                             ;   in Loop: Header=BB19_911 Depth=1
	v_cmp_lt_u64_e32 vcc, s[10:11], v[5:6]
	v_add_u32_e32 v15, 7, v18
	v_cndmask_b32_e32 v22, v17, v15, vcc
	v_cndmask_b32_e64 v15, 0, 1, vcc
	v_lshrrev_b64 v[15:16], v15, v[5:6]
; %bb.1026:                             ;   in Loop: Header=BB19_911 Depth=1
	s_andn2_saveexec_b64 s[0:1], s[0:1]
; %bb.1027:                             ;   in Loop: Header=BB19_911 Depth=1
	v_mov_b32_e32 v16, v6
	v_bfe_u32 v22, v5, 23, 1
	v_mov_b32_e32 v15, v5
; %bb.1028:                             ;   in Loop: Header=BB19_911 Depth=1
	s_or_b64 exec, exec, s[0:1]
	v_lshrrev_b64 v[15:16], 20, v[15:16]
	v_cmp_gt_i32_e32 vcc, 16, v22
	v_cndmask_b32_e32 v18, 0, v16, vcc
	v_cndmask_b32_e32 v17, 7, v15, vcc
	v_cmp_ne_u64_e32 vcc, 0, v[17:18]
	v_cmp_ne_u32_e64 s[0:1], 0, v22
	v_mov_b32_e32 v16, v4
	s_or_b64 s[0:1], s[0:1], vcc
	v_mov_b32_e32 v15, v3
	s_and_saveexec_b64 s[18:19], s[0:1]
	s_xor_b64 s[0:1], exec, s[18:19]
; %bb.1029:                             ;   in Loop: Header=BB19_911 Depth=1
	v_min_i32_e32 v5, 15, v22
	v_lshl_or_b32 v3, v5, 3, v3
	v_and_or_b32 v15, v17, 7, v3
; %bb.1030:                             ;   in Loop: Header=BB19_911 Depth=1
	s_andn2_saveexec_b64 s[0:1], s[0:1]
	s_or_b64 exec, exec, s[0:1]
.LBB19_1031:                            ;   in Loop: Header=BB19_911 Depth=1
	s_or_b64 exec, exec, s[16:17]
                                        ; implicit-def: $vgpr3
.LBB19_1032:                            ;   in Loop: Header=BB19_911 Depth=1
	s_andn2_saveexec_b64 s[0:1], s[14:15]
; %bb.1033:                             ;   in Loop: Header=BB19_911 Depth=1
	v_or_b32_e32 v15, 0x7e, v3
; %bb.1034:                             ;   in Loop: Header=BB19_911 Depth=1
	s_or_b64 exec, exec, s[0:1]
                                        ; implicit-def: $vgpr17
.LBB19_1035:                            ;   in Loop: Header=BB19_911 Depth=1
	s_andn2_saveexec_b64 s[0:1], s[12:13]
; %bb.1036:                             ;   in Loop: Header=BB19_911 Depth=1
	v_or_b32_sdwa v15, v17, s29 dst_sel:DWORD dst_unused:UNUSED_PAD src0_sel:BYTE_3 src1_sel:DWORD
; %bb.1037:                             ;   in Loop: Header=BB19_911 Depth=1
	s_or_b64 exec, exec, s[0:1]
	v_and_b32_e32 v3, 0xffff0000, v4
	v_div_scale_f32 v4, s[0:1], s71, s71, v3
	v_div_scale_f32 v5, vcc, v3, s71, v3
	v_rcp_f32_e32 v16, v4
	v_fma_f32 v17, -v4, v16, 1.0
	v_fmac_f32_e32 v16, v17, v16
	v_mul_f32_e32 v17, v5, v16
	v_fma_f32 v18, -v4, v17, v5
	v_fmac_f32_e32 v17, v18, v16
	v_fma_f32 v4, -v4, v17, v5
	v_div_fmas_f32 v4, v4, v16, v17
	v_div_fixup_f32 v16, v4, s71, v3
	v_and_b32_e32 v5, 0x7f800000, v16
	v_cmp_ne_u64_e32 vcc, s[6:7], v[5:6]
                                        ; implicit-def: $vgpr4_vgpr5
	s_and_saveexec_b64 s[0:1], vcc
	s_xor_b64 s[12:13], exec, s[0:1]
	s_cbranch_execz .LBB19_1053
; %bb.1038:                             ;   in Loop: Header=BB19_911 Depth=1
	v_and_b32_e32 v5, 0x7fffffff, v16
	v_cmp_gt_u64_e32 vcc, s[8:9], v[5:6]
	v_and_b32_sdwa v3, v16, s25 dst_sel:DWORD dst_unused:UNUSED_PAD src0_sel:BYTE_3 src1_sel:DWORD
                                        ; implicit-def: $vgpr4_vgpr5
	s_and_saveexec_b64 s[0:1], vcc
	s_xor_b64 s[14:15], exec, s[0:1]
	s_cbranch_execz .LBB19_1050
; %bb.1039:                             ;   in Loop: Header=BB19_911 Depth=1
	v_mov_b32_e32 v4, 0
	v_cmp_ne_u32_e32 vcc, 0, v16
	v_mov_b32_e32 v5, 0
	s_and_saveexec_b64 s[16:17], vcc
	s_cbranch_execz .LBB19_1049
; %bb.1040:                             ;   in Loop: Header=BB19_911 Depth=1
	v_bfe_u32 v18, v16, 23, 8
	v_sub_u32_e32 v5, 0x79, v18
	v_cmp_gt_u32_e32 vcc, s28, v18
	v_cndmask_b32_e32 v5, 0, v5, vcc
	v_cmp_eq_u32_e32 vcc, 0, v18
	v_cndmask_b32_e32 v22, v5, v19, vcc
	v_and_b32_e32 v4, 0x7fffff, v16
	v_add_u32_e32 v5, 20, v22
	v_or_b32_e32 v23, 0x800000, v4
	v_lshlrev_b64 v[16:17], v5, -1
	v_cndmask_b32_e32 v5, v23, v4, vcc
	v_add_u32_e32 v4, 19, v22
	v_bfi_b32 v16, v16, 0, v5
	v_lshlrev_b64 v[23:24], v4, 1
	v_lshrrev_b64 v[4:5], v22, v[5:6]
	v_bfi_b32 v17, v17, 0, 0
	v_cmp_eq_u64_e64 s[0:1], v[16:17], v[23:24]
	v_mov_b32_e32 v17, v5
	v_mov_b32_e32 v16, v4
	s_and_saveexec_b64 s[18:19], s[0:1]
; %bb.1041:                             ;   in Loop: Header=BB19_911 Depth=1
	v_bfe_u32 v5, v4, 20, 1
	v_add_co_u32_e64 v5, s[0:1], v4, v5
	v_add_co_u32_e64 v16, s[0:1], -1, v5
; %bb.1042:                             ;   in Loop: Header=BB19_911 Depth=1
	s_or_b64 exec, exec, s[18:19]
	v_add_u32_e32 v5, 0xffffff81, v18
	v_cndmask_b32_e32 v5, v5, v20, vcc
	v_lshrrev_b32_e32 v17, 23, v4
	v_add3_u32 v23, v22, v5, v17
	v_add_u32_e32 v22, 6, v23
	v_and_b32_e32 v5, 0xfffff, v16
	v_add_u32_e32 v5, v5, v4
	v_cmp_ne_u32_e32 vcc, 0, v22
                                        ; implicit-def: $vgpr16_vgpr17
                                        ; implicit-def: $vgpr18
	s_and_saveexec_b64 s[0:1], vcc
	s_xor_b64 s[0:1], exec, s[0:1]
; %bb.1043:                             ;   in Loop: Header=BB19_911 Depth=1
	v_cmp_lt_u64_e32 vcc, s[10:11], v[5:6]
	v_add_u32_e32 v4, 7, v23
	v_cndmask_b32_e32 v18, v22, v4, vcc
	v_cndmask_b32_e64 v4, 0, 1, vcc
	v_lshrrev_b64 v[16:17], v4, v[5:6]
; %bb.1044:                             ;   in Loop: Header=BB19_911 Depth=1
	s_andn2_saveexec_b64 s[0:1], s[0:1]
; %bb.1045:                             ;   in Loop: Header=BB19_911 Depth=1
	v_mov_b32_e32 v17, v6
	v_bfe_u32 v18, v5, 23, 1
	v_mov_b32_e32 v16, v5
; %bb.1046:                             ;   in Loop: Header=BB19_911 Depth=1
	s_or_b64 exec, exec, s[0:1]
	v_lshrrev_b64 v[4:5], 20, v[16:17]
	v_cmp_gt_i32_e32 vcc, 16, v18
	v_cndmask_b32_e32 v17, 0, v5, vcc
	v_cndmask_b32_e32 v16, 7, v4, vcc
	v_cmp_ne_u64_e32 vcc, 0, v[16:17]
	v_cmp_ne_u32_e64 s[0:1], 0, v18
	v_mov_b32_e32 v5, v4
	s_or_b64 s[0:1], s[0:1], vcc
	v_mov_b32_e32 v4, v3
	s_and_saveexec_b64 s[18:19], s[0:1]
	s_xor_b64 s[0:1], exec, s[18:19]
; %bb.1047:                             ;   in Loop: Header=BB19_911 Depth=1
	v_min_i32_e32 v4, 15, v18
	v_lshl_or_b32 v3, v4, 3, v3
	v_and_or_b32 v4, v16, 7, v3
; %bb.1048:                             ;   in Loop: Header=BB19_911 Depth=1
	s_andn2_saveexec_b64 s[0:1], s[0:1]
	s_or_b64 exec, exec, s[0:1]
.LBB19_1049:                            ;   in Loop: Header=BB19_911 Depth=1
	s_or_b64 exec, exec, s[16:17]
                                        ; implicit-def: $vgpr3
.LBB19_1050:                            ;   in Loop: Header=BB19_911 Depth=1
	s_andn2_saveexec_b64 s[0:1], s[14:15]
; %bb.1051:                             ;   in Loop: Header=BB19_911 Depth=1
	v_or_b32_e32 v4, 0x7e, v3
; %bb.1052:                             ;   in Loop: Header=BB19_911 Depth=1
	s_or_b64 exec, exec, s[0:1]
                                        ; implicit-def: $vgpr16
.LBB19_1053:                            ;   in Loop: Header=BB19_911 Depth=1
	s_andn2_saveexec_b64 s[0:1], s[12:13]
	s_cbranch_execz .LBB19_910
; %bb.1054:                             ;   in Loop: Header=BB19_911 Depth=1
	v_or_b32_sdwa v4, v16, s29 dst_sel:DWORD dst_unused:UNUSED_PAD src0_sel:BYTE_3 src1_sel:DWORD
	s_branch .LBB19_910
.LBB19_1055:
	s_or_b64 exec, exec, s[2:3]
.LBB19_1056:
	s_and_b32 s0, s67, 15
	s_mov_b32 s1, 0
	s_cmp_lg_u64 s[0:1], 0
	s_cselect_b64 s[2:3], -1, 0
	s_xor_b64 s[4:5], s[22:23], -1
	s_or_b64 s[2:3], s[4:5], s[2:3]
	s_mov_b64 s[0:1], -1
	s_and_b64 vcc, exec, s[2:3]
	s_cbranch_vccz .LBB19_1256
; %bb.1057:
	s_sub_i32 s0, 0, s67
	s_bfe_u32 s0, s0, 0x30001
	s_min_i32 s22, s0, s48
	v_cmp_gt_i32_e32 vcc, s22, v0
	s_and_saveexec_b64 s[2:3], vcc
	s_cbranch_execz .LBB19_1080
; %bb.1058:
	v_mov_b32_e32 v2, 0
	s_add_u32 s0, s26, s34
	v_mov_b32_e32 v1, v2
	v_lshlrev_b32_e32 v3, 1, v0
	s_addc_u32 s1, s27, s35
	v_mov_b32_e32 v4, s1
	v_add_co_u32_e32 v3, vcc, s0, v3
	v_mov_b32_e32 v6, v1
	v_addc_co_u32_e32 v4, vcc, 0, v4, vcc
	s_lshl_b32 s20, s62, 1
	s_mov_b64 s[4:5], 0
	s_mov_b64 s[6:7], 0x7f800000
	s_movk_i32 s21, 0x80
	s_mov_b64 s[8:9], 0x43e00001
	s_movk_i32 s23, 0x7a
	;; [unrolled: 2-line block ×3, first 2 shown]
	v_mov_b32_e32 v10, 0x78
	v_mov_b32_e32 v11, 0xffffff82
	;; [unrolled: 1-line block ×3, first 2 shown]
	s_branch .LBB19_1060
.LBB19_1059:                            ;   in Loop: Header=BB19_1060 Depth=1
	s_or_b64 exec, exec, s[0:1]
	v_mov_b32_e32 v8, s70
	v_add_co_u32_e32 v7, vcc, s69, v5
	v_addc_co_u32_e32 v8, vcc, v8, v6, vcc
	v_add_co_u32_e32 v5, vcc, s62, v5
	v_addc_co_u32_e32 v6, vcc, 0, v6, vcc
	v_cmp_le_i32_e32 vcc, s22, v5
	s_or_b64 s[4:5], vcc, s[4:5]
	v_add_co_u32_e32 v3, vcc, s20, v3
	v_addc_co_u32_e32 v4, vcc, 0, v4, vcc
	global_store_byte v[7:8], v1, off
	s_andn2_b64 exec, exec, s[4:5]
	s_cbranch_execz .LBB19_1080
.LBB19_1060:                            ; =>This Inner Loop Header: Depth=1
	global_load_ushort v1, v[3:4], off
	s_waitcnt vmcnt(0)
	v_lshlrev_b32_e32 v1, 16, v1
	v_div_scale_f32 v7, s[0:1], s33, s33, v1
	v_div_scale_f32 v8, vcc, v1, s33, v1
	v_rcp_f32_e32 v9, v7
	v_fma_f32 v12, -v7, v9, 1.0
	v_fmac_f32_e32 v9, v12, v9
	v_mul_f32_e32 v12, v8, v9
	v_fma_f32 v13, -v7, v12, v8
	v_fmac_f32_e32 v12, v13, v9
	v_fma_f32 v7, -v7, v12, v8
	v_div_fmas_f32 v7, v7, v9, v12
	v_div_fixup_f32 v7, v7, s33, v1
	v_and_b32_e32 v1, 0x7f800000, v7
	v_cmp_ne_u64_e32 vcc, s[6:7], v[1:2]
                                        ; implicit-def: $vgpr1
	s_and_saveexec_b64 s[0:1], vcc
	s_xor_b64 s[12:13], exec, s[0:1]
	s_cbranch_execz .LBB19_1078
; %bb.1061:                             ;   in Loop: Header=BB19_1060 Depth=1
	v_and_b32_e32 v1, 0x7fffffff, v7
	v_cmp_gt_u64_e32 vcc, s[8:9], v[1:2]
	v_and_b32_sdwa v12, v7, s21 dst_sel:DWORD dst_unused:UNUSED_PAD src0_sel:BYTE_3 src1_sel:DWORD
                                        ; implicit-def: $vgpr1
	s_and_saveexec_b64 s[0:1], vcc
	s_xor_b64 s[14:15], exec, s[0:1]
	s_cbranch_execz .LBB19_1075
; %bb.1062:                             ;   in Loop: Header=BB19_1060 Depth=1
	v_cmp_ne_u32_e32 vcc, 0, v7
	v_mov_b32_e32 v1, 0
	s_and_saveexec_b64 s[16:17], vcc
	s_cbranch_execz .LBB19_1074
; %bb.1063:                             ;   in Loop: Header=BB19_1060 Depth=1
	v_bfe_u32 v13, v7, 23, 8
	v_and_b32_e32 v1, 0x7fffff, v7
	v_sub_u32_e32 v7, 0x79, v13
	v_cmp_gt_u32_e32 vcc, s23, v13
	v_cndmask_b32_e32 v7, 0, v7, vcc
	v_cmp_eq_u32_e32 vcc, 0, v13
	v_cndmask_b32_e32 v14, v7, v10, vcc
	v_add_u32_e32 v7, 20, v14
	v_or_b32_e32 v9, 0x800000, v1
	v_lshlrev_b64 v[7:8], v7, -1
	v_cndmask_b32_e32 v1, v9, v1, vcc
	v_bfi_b32 v15, v7, 0, v1
	v_add_u32_e32 v7, 19, v14
	v_bfi_b32 v16, v8, 0, 0
	v_lshlrev_b64 v[17:18], v7, 1
	v_lshrrev_b64 v[7:8], v14, v[1:2]
	v_cmp_eq_u64_e64 s[0:1], v[15:16], v[17:18]
	v_mov_b32_e32 v9, v8
	v_mov_b32_e32 v8, v7
	s_and_saveexec_b64 s[18:19], s[0:1]
; %bb.1064:                             ;   in Loop: Header=BB19_1060 Depth=1
	v_bfe_u32 v1, v7, 20, 1
	v_add_co_u32_e64 v1, s[0:1], v7, v1
	v_add_co_u32_e64 v8, s[0:1], -1, v1
; %bb.1065:                             ;   in Loop: Header=BB19_1060 Depth=1
	s_or_b64 exec, exec, s[18:19]
	v_add_u32_e32 v1, 0xffffff81, v13
	v_cndmask_b32_e32 v1, v1, v11, vcc
	v_lshrrev_b32_e32 v9, 23, v7
	v_add3_u32 v14, v14, v1, v9
	v_add_u32_e32 v13, 6, v14
	v_and_b32_e32 v1, 0xfffff, v8
	v_add_u32_e32 v1, v1, v7
	v_cmp_ne_u32_e32 vcc, 0, v13
                                        ; implicit-def: $vgpr7_vgpr8
                                        ; implicit-def: $vgpr9
	s_and_saveexec_b64 s[0:1], vcc
	s_xor_b64 s[0:1], exec, s[0:1]
; %bb.1066:                             ;   in Loop: Header=BB19_1060 Depth=1
	v_cmp_lt_u64_e32 vcc, s[10:11], v[1:2]
	v_add_u32_e32 v7, 7, v14
	v_cndmask_b32_e32 v9, v13, v7, vcc
	v_cndmask_b32_e64 v7, 0, 1, vcc
	v_lshrrev_b64 v[7:8], v7, v[1:2]
; %bb.1067:                             ;   in Loop: Header=BB19_1060 Depth=1
	s_andn2_saveexec_b64 s[0:1], s[0:1]
; %bb.1068:                             ;   in Loop: Header=BB19_1060 Depth=1
	v_mov_b32_e32 v8, v2
	v_bfe_u32 v9, v1, 23, 1
	v_mov_b32_e32 v7, v1
; %bb.1069:                             ;   in Loop: Header=BB19_1060 Depth=1
	s_or_b64 exec, exec, s[0:1]
	v_lshrrev_b64 v[7:8], 20, v[7:8]
	v_cmp_gt_i32_e32 vcc, 16, v9
	v_cndmask_b32_e32 v8, 0, v8, vcc
	v_cndmask_b32_e32 v7, 7, v7, vcc
	v_cmp_ne_u64_e32 vcc, 0, v[7:8]
	v_cmp_ne_u32_e64 s[0:1], 0, v9
	s_or_b64 s[0:1], s[0:1], vcc
                                        ; implicit-def: $vgpr1
	s_and_saveexec_b64 s[18:19], s[0:1]
	s_xor_b64 s[0:1], exec, s[18:19]
; %bb.1070:                             ;   in Loop: Header=BB19_1060 Depth=1
	v_min_i32_e32 v1, 15, v9
	v_lshl_or_b32 v1, v1, 3, v12
	v_and_or_b32 v1, v7, 7, v1
                                        ; implicit-def: $vgpr12
; %bb.1071:                             ;   in Loop: Header=BB19_1060 Depth=1
	s_andn2_saveexec_b64 s[0:1], s[0:1]
; %bb.1072:                             ;   in Loop: Header=BB19_1060 Depth=1
	v_mov_b32_e32 v1, v12
; %bb.1073:                             ;   in Loop: Header=BB19_1060 Depth=1
	s_or_b64 exec, exec, s[0:1]
.LBB19_1074:                            ;   in Loop: Header=BB19_1060 Depth=1
	s_or_b64 exec, exec, s[16:17]
                                        ; implicit-def: $vgpr12
.LBB19_1075:                            ;   in Loop: Header=BB19_1060 Depth=1
	s_andn2_saveexec_b64 s[0:1], s[14:15]
; %bb.1076:                             ;   in Loop: Header=BB19_1060 Depth=1
	v_or_b32_e32 v1, 0x7e, v12
; %bb.1077:                             ;   in Loop: Header=BB19_1060 Depth=1
	s_or_b64 exec, exec, s[0:1]
                                        ; implicit-def: $vgpr7
.LBB19_1078:                            ;   in Loop: Header=BB19_1060 Depth=1
	s_andn2_saveexec_b64 s[0:1], s[12:13]
	s_cbranch_execz .LBB19_1059
; %bb.1079:                             ;   in Loop: Header=BB19_1060 Depth=1
	v_or_b32_sdwa v1, v7, s24 dst_sel:DWORD dst_unused:UNUSED_PAD src0_sel:BYTE_3 src1_sel:DWORD
	s_branch .LBB19_1059
.LBB19_1080:
	s_or_b64 exec, exec, s[2:3]
	s_sub_i32 s40, s48, s22
	s_ashr_i32 s0, s40, 31
	s_lshr_b32 s0, s0, 29
	s_add_i32 s0, s40, s0
	s_ashr_i32 s20, s0, 3
	s_ashr_i32 s23, s22, 31
	v_cmp_gt_i32_e32 vcc, s20, v0
	s_and_saveexec_b64 s[2:3], vcc
	s_cbranch_execz .LBB19_1227
; %bb.1081:
	s_add_u32 s0, s22, s64
	s_addc_u32 s1, s23, s63
	s_add_u32 s0, s0, s66
	s_addc_u32 s1, s1, s65
	s_add_u32 s0, s30, s0
	v_lshlrev_b32_e32 v1, 3, v0
	s_addc_u32 s1, s31, s1
	v_mov_b32_e32 v2, s1
	v_add_co_u32_e32 v7, vcc, s0, v1
	s_lshl_b32 s21, s62, 3
	s_lshl_b64 s[0:1], s[22:23], 1
	s_add_u32 s0, s26, s0
	s_addc_u32 s1, s27, s1
	s_add_u32 s0, s0, s34
	v_addc_co_u32_e32 v8, vcc, 0, v2, vcc
	v_lshlrev_b32_e32 v1, 4, v0
	s_addc_u32 s1, s1, s35
	v_mov_b32_e32 v2, s1
	v_add_co_u32_e32 v9, vcc, s0, v1
	v_mov_b32_e32 v6, 0
	v_addc_co_u32_e32 v10, vcc, 0, v2, vcc
	s_lshl_b32 s24, s62, 4
	s_mov_b64 s[4:5], 0
	s_mov_b64 s[6:7], 0x7f800000
	s_movk_i32 s25, 0x80
	s_mov_b64 s[8:9], 0x43e00001
	s_movk_i32 s28, 0x7a
	;; [unrolled: 2-line block ×3, first 2 shown]
	s_mov_b32 s36, 0xff00
	s_mov_b32 s37, 0x4020c0c
	v_mov_b32_e32 v19, 0x78
	v_mov_b32_e32 v20, 0xffffff82
	;; [unrolled: 1-line block ×3, first 2 shown]
	s_branch .LBB19_1083
.LBB19_1082:                            ;   in Loop: Header=BB19_1083 Depth=1
	s_or_b64 exec, exec, s[0:1]
	v_lshlrev_b32_e32 v3, 24, v4
	v_lshlrev_b32_e32 v4, 16, v15
	v_and_b32_e32 v4, 0xff0000, v4
	v_lshlrev_b32_e32 v2, 8, v2
	v_or_b32_e32 v3, v3, v4
	v_and_b32_e32 v2, 0xff00, v2
	v_and_b32_e32 v4, 0xff, v14
	v_or3_b32 v2, v3, v2, v4
	v_lshlrev_b32_e32 v3, 16, v13
	v_lshlrev_b32_e32 v4, 8, v12
	v_perm_b32 v1, v1, v3, s37
	v_and_or_b32 v1, v4, s36, v1
	v_or_b32_sdwa v1, v1, v11 dst_sel:DWORD dst_unused:UNUSED_PAD src0_sel:DWORD src1_sel:BYTE_0
	global_store_dwordx2 v[7:8], v[1:2], off
	v_add_co_u32_e32 v7, vcc, s21, v7
	v_add_u32_e32 v21, s62, v21
	v_addc_co_u32_e32 v8, vcc, 0, v8, vcc
	v_cmp_le_i32_e32 vcc, s20, v21
	s_or_b64 s[4:5], vcc, s[4:5]
	v_add_co_u32_e32 v9, vcc, s24, v9
	v_addc_co_u32_e32 v10, vcc, 0, v10, vcc
	s_andn2_b64 exec, exec, s[4:5]
	s_cbranch_execz .LBB19_1227
.LBB19_1083:                            ; =>This Inner Loop Header: Depth=1
	global_load_dwordx4 v[1:4], v[9:10], off
	s_waitcnt vmcnt(0)
	v_lshlrev_b32_e32 v5, 16, v1
	v_div_scale_f32 v11, s[0:1], s33, s33, v5
	v_div_scale_f32 v12, vcc, v5, s33, v5
	v_rcp_f32_e32 v13, v11
	v_fma_f32 v14, -v11, v13, 1.0
	v_fmac_f32_e32 v13, v14, v13
	v_mul_f32_e32 v14, v12, v13
	v_fma_f32 v15, -v11, v14, v12
	v_fmac_f32_e32 v14, v15, v13
	v_fma_f32 v11, -v11, v14, v12
	v_div_fmas_f32 v11, v11, v13, v14
	v_div_fixup_f32 v14, v11, s33, v5
	v_and_b32_e32 v5, 0x7f800000, v14
	v_cmp_ne_u64_e32 vcc, s[6:7], v[5:6]
                                        ; implicit-def: $vgpr11_vgpr12
	s_and_saveexec_b64 s[0:1], vcc
	s_xor_b64 s[12:13], exec, s[0:1]
	s_cbranch_execz .LBB19_1099
; %bb.1084:                             ;   in Loop: Header=BB19_1083 Depth=1
	v_and_b32_e32 v5, 0x7fffffff, v14
	v_cmp_gt_u64_e32 vcc, s[8:9], v[5:6]
	v_and_b32_sdwa v13, v14, s25 dst_sel:DWORD dst_unused:UNUSED_PAD src0_sel:BYTE_3 src1_sel:DWORD
                                        ; implicit-def: $vgpr11_vgpr12
	s_and_saveexec_b64 s[0:1], vcc
	s_xor_b64 s[14:15], exec, s[0:1]
	s_cbranch_execz .LBB19_1096
; %bb.1085:                             ;   in Loop: Header=BB19_1083 Depth=1
	v_mov_b32_e32 v11, 0
	v_cmp_ne_u32_e32 vcc, 0, v14
	v_mov_b32_e32 v12, 0
	s_and_saveexec_b64 s[16:17], vcc
	s_cbranch_execz .LBB19_1095
; %bb.1086:                             ;   in Loop: Header=BB19_1083 Depth=1
	v_bfe_u32 v16, v14, 23, 8
	v_sub_u32_e32 v11, 0x79, v16
	v_cmp_gt_u32_e32 vcc, s28, v16
	v_cndmask_b32_e32 v11, 0, v11, vcc
	v_cmp_eq_u32_e32 vcc, 0, v16
	v_cndmask_b32_e32 v17, v11, v19, vcc
	v_and_b32_e32 v5, 0x7fffff, v14
	v_add_u32_e32 v11, 20, v17
	v_or_b32_e32 v14, 0x800000, v5
	v_lshlrev_b64 v[11:12], v11, -1
	v_cndmask_b32_e32 v5, v14, v5, vcc
	v_bfi_b32 v14, v11, 0, v5
	v_add_u32_e32 v11, 19, v17
	v_bfi_b32 v15, v12, 0, 0
	v_lshlrev_b64 v[22:23], v11, 1
	v_lshrrev_b64 v[11:12], v17, v[5:6]
	v_cmp_eq_u64_e64 s[0:1], v[14:15], v[22:23]
	v_mov_b32_e32 v15, v12
	v_mov_b32_e32 v14, v11
	s_and_saveexec_b64 s[18:19], s[0:1]
; %bb.1087:                             ;   in Loop: Header=BB19_1083 Depth=1
	v_bfe_u32 v5, v11, 20, 1
	v_add_co_u32_e64 v5, s[0:1], v11, v5
	v_add_co_u32_e64 v14, s[0:1], -1, v5
; %bb.1088:                             ;   in Loop: Header=BB19_1083 Depth=1
	s_or_b64 exec, exec, s[18:19]
	v_add_u32_e32 v5, 0xffffff81, v16
	v_cndmask_b32_e32 v5, v5, v20, vcc
	v_lshrrev_b32_e32 v12, 23, v11
	v_add3_u32 v17, v17, v5, v12
	v_add_u32_e32 v15, 6, v17
	v_and_b32_e32 v5, 0xfffff, v14
	v_add_u32_e32 v5, v5, v11
	v_cmp_ne_u32_e32 vcc, 0, v15
                                        ; implicit-def: $vgpr11_vgpr12
                                        ; implicit-def: $vgpr16
	s_and_saveexec_b64 s[0:1], vcc
	s_xor_b64 s[0:1], exec, s[0:1]
; %bb.1089:                             ;   in Loop: Header=BB19_1083 Depth=1
	v_cmp_lt_u64_e32 vcc, s[10:11], v[5:6]
	v_add_u32_e32 v11, 7, v17
	v_cndmask_b32_e32 v16, v15, v11, vcc
	v_cndmask_b32_e64 v11, 0, 1, vcc
	v_lshrrev_b64 v[11:12], v11, v[5:6]
; %bb.1090:                             ;   in Loop: Header=BB19_1083 Depth=1
	s_andn2_saveexec_b64 s[0:1], s[0:1]
; %bb.1091:                             ;   in Loop: Header=BB19_1083 Depth=1
	v_mov_b32_e32 v12, v6
	v_bfe_u32 v16, v5, 23, 1
	v_mov_b32_e32 v11, v5
; %bb.1092:                             ;   in Loop: Header=BB19_1083 Depth=1
	s_or_b64 exec, exec, s[0:1]
	v_lshrrev_b64 v[11:12], 20, v[11:12]
	v_cmp_gt_i32_e32 vcc, 16, v16
	v_cndmask_b32_e32 v15, 0, v12, vcc
	v_cndmask_b32_e32 v14, 7, v11, vcc
	v_cmp_ne_u64_e32 vcc, 0, v[14:15]
	v_cmp_ne_u32_e64 s[0:1], 0, v16
	s_or_b64 s[0:1], s[0:1], vcc
	v_mov_b32_e32 v11, v13
	v_mov_b32_e32 v12, v14
	s_and_saveexec_b64 s[18:19], s[0:1]
	s_xor_b64 s[0:1], exec, s[18:19]
; %bb.1093:                             ;   in Loop: Header=BB19_1083 Depth=1
	v_min_i32_e32 v5, 15, v16
	v_lshl_or_b32 v5, v5, 3, v13
	v_and_or_b32 v11, v14, 7, v5
; %bb.1094:                             ;   in Loop: Header=BB19_1083 Depth=1
	s_andn2_saveexec_b64 s[0:1], s[0:1]
	s_or_b64 exec, exec, s[0:1]
.LBB19_1095:                            ;   in Loop: Header=BB19_1083 Depth=1
	s_or_b64 exec, exec, s[16:17]
                                        ; implicit-def: $vgpr13
.LBB19_1096:                            ;   in Loop: Header=BB19_1083 Depth=1
	s_andn2_saveexec_b64 s[0:1], s[14:15]
; %bb.1097:                             ;   in Loop: Header=BB19_1083 Depth=1
	v_or_b32_e32 v11, 0x7e, v13
; %bb.1098:                             ;   in Loop: Header=BB19_1083 Depth=1
	s_or_b64 exec, exec, s[0:1]
                                        ; implicit-def: $vgpr14
.LBB19_1099:                            ;   in Loop: Header=BB19_1083 Depth=1
	s_andn2_saveexec_b64 s[0:1], s[12:13]
; %bb.1100:                             ;   in Loop: Header=BB19_1083 Depth=1
	v_or_b32_sdwa v11, v14, s29 dst_sel:DWORD dst_unused:UNUSED_PAD src0_sel:BYTE_3 src1_sel:DWORD
; %bb.1101:                             ;   in Loop: Header=BB19_1083 Depth=1
	s_or_b64 exec, exec, s[0:1]
	v_and_b32_e32 v1, 0xffff0000, v1
	v_div_scale_f32 v5, s[0:1], s33, s33, v1
	v_div_scale_f32 v12, vcc, v1, s33, v1
	v_rcp_f32_e32 v13, v5
	v_fma_f32 v14, -v5, v13, 1.0
	v_fmac_f32_e32 v13, v14, v13
	v_mul_f32_e32 v14, v12, v13
	v_fma_f32 v15, -v5, v14, v12
	v_fmac_f32_e32 v14, v15, v13
	v_fma_f32 v5, -v5, v14, v12
	v_div_fmas_f32 v5, v5, v13, v14
                                        ; implicit-def: $vgpr12_vgpr13
	v_div_fixup_f32 v14, v5, s33, v1
	v_and_b32_e32 v5, 0x7f800000, v14
	v_cmp_ne_u64_e32 vcc, s[6:7], v[5:6]
	s_and_saveexec_b64 s[0:1], vcc
	s_xor_b64 s[12:13], exec, s[0:1]
	s_cbranch_execz .LBB19_1117
; %bb.1102:                             ;   in Loop: Header=BB19_1083 Depth=1
	v_and_b32_e32 v5, 0x7fffffff, v14
	v_cmp_gt_u64_e32 vcc, s[8:9], v[5:6]
	v_and_b32_sdwa v1, v14, s25 dst_sel:DWORD dst_unused:UNUSED_PAD src0_sel:BYTE_3 src1_sel:DWORD
                                        ; implicit-def: $vgpr12_vgpr13
	s_and_saveexec_b64 s[0:1], vcc
	s_xor_b64 s[14:15], exec, s[0:1]
	s_cbranch_execz .LBB19_1114
; %bb.1103:                             ;   in Loop: Header=BB19_1083 Depth=1
	v_mov_b32_e32 v12, 0
	v_cmp_ne_u32_e32 vcc, 0, v14
	v_mov_b32_e32 v13, 0
	s_and_saveexec_b64 s[16:17], vcc
	s_cbranch_execz .LBB19_1113
; %bb.1104:                             ;   in Loop: Header=BB19_1083 Depth=1
	v_bfe_u32 v15, v14, 23, 8
	v_sub_u32_e32 v12, 0x79, v15
	v_cmp_gt_u32_e32 vcc, s28, v15
	v_cndmask_b32_e32 v12, 0, v12, vcc
	v_cmp_eq_u32_e32 vcc, 0, v15
	v_cndmask_b32_e32 v16, v12, v19, vcc
	v_and_b32_e32 v5, 0x7fffff, v14
	v_add_u32_e32 v12, 20, v16
	v_or_b32_e32 v14, 0x800000, v5
	v_lshlrev_b64 v[12:13], v12, -1
	v_cndmask_b32_e32 v5, v14, v5, vcc
	v_bfi_b32 v17, v12, 0, v5
	v_add_u32_e32 v12, 19, v16
	v_bfi_b32 v18, v13, 0, 0
	v_lshlrev_b64 v[22:23], v12, 1
	v_lshrrev_b64 v[12:13], v16, v[5:6]
	v_cmp_eq_u64_e64 s[0:1], v[17:18], v[22:23]
	v_mov_b32_e32 v14, v13
	v_mov_b32_e32 v13, v12
	s_and_saveexec_b64 s[18:19], s[0:1]
; %bb.1105:                             ;   in Loop: Header=BB19_1083 Depth=1
	v_bfe_u32 v5, v12, 20, 1
	v_add_co_u32_e64 v5, s[0:1], v12, v5
	v_add_co_u32_e64 v13, s[0:1], -1, v5
; %bb.1106:                             ;   in Loop: Header=BB19_1083 Depth=1
	s_or_b64 exec, exec, s[18:19]
	v_add_u32_e32 v5, 0xffffff81, v15
	v_cndmask_b32_e32 v5, v5, v20, vcc
	v_lshrrev_b32_e32 v14, 23, v12
	v_add3_u32 v15, v16, v5, v14
	v_add_u32_e32 v14, 6, v15
	v_and_b32_e32 v5, 0xfffff, v13
	v_add_u32_e32 v5, v5, v12
	v_cmp_ne_u32_e32 vcc, 0, v14
                                        ; implicit-def: $vgpr12_vgpr13
                                        ; implicit-def: $vgpr16
	s_and_saveexec_b64 s[0:1], vcc
	s_xor_b64 s[0:1], exec, s[0:1]
; %bb.1107:                             ;   in Loop: Header=BB19_1083 Depth=1
	v_cmp_lt_u64_e32 vcc, s[10:11], v[5:6]
	v_add_u32_e32 v12, 7, v15
	v_cndmask_b32_e32 v16, v14, v12, vcc
	v_cndmask_b32_e64 v12, 0, 1, vcc
	v_lshrrev_b64 v[12:13], v12, v[5:6]
; %bb.1108:                             ;   in Loop: Header=BB19_1083 Depth=1
	s_andn2_saveexec_b64 s[0:1], s[0:1]
; %bb.1109:                             ;   in Loop: Header=BB19_1083 Depth=1
	v_mov_b32_e32 v13, v6
	v_bfe_u32 v16, v5, 23, 1
	v_mov_b32_e32 v12, v5
; %bb.1110:                             ;   in Loop: Header=BB19_1083 Depth=1
	s_or_b64 exec, exec, s[0:1]
	v_lshrrev_b64 v[12:13], 20, v[12:13]
	v_cmp_gt_i32_e32 vcc, 16, v16
	v_cndmask_b32_e32 v15, 0, v13, vcc
	v_cndmask_b32_e32 v14, 7, v12, vcc
	v_cmp_ne_u64_e32 vcc, 0, v[14:15]
	v_cmp_ne_u32_e64 s[0:1], 0, v16
	v_mov_b32_e32 v13, v2
	s_or_b64 s[0:1], s[0:1], vcc
	v_mov_b32_e32 v12, v1
	s_and_saveexec_b64 s[18:19], s[0:1]
	s_xor_b64 s[0:1], exec, s[18:19]
; %bb.1111:                             ;   in Loop: Header=BB19_1083 Depth=1
	v_min_i32_e32 v5, 15, v16
	v_lshl_or_b32 v1, v5, 3, v1
	v_and_or_b32 v12, v14, 7, v1
; %bb.1112:                             ;   in Loop: Header=BB19_1083 Depth=1
	s_andn2_saveexec_b64 s[0:1], s[0:1]
	s_or_b64 exec, exec, s[0:1]
.LBB19_1113:                            ;   in Loop: Header=BB19_1083 Depth=1
	s_or_b64 exec, exec, s[16:17]
                                        ; implicit-def: $vgpr1
.LBB19_1114:                            ;   in Loop: Header=BB19_1083 Depth=1
	s_andn2_saveexec_b64 s[0:1], s[14:15]
; %bb.1115:                             ;   in Loop: Header=BB19_1083 Depth=1
	v_or_b32_e32 v12, 0x7e, v1
; %bb.1116:                             ;   in Loop: Header=BB19_1083 Depth=1
	s_or_b64 exec, exec, s[0:1]
                                        ; implicit-def: $vgpr14
.LBB19_1117:                            ;   in Loop: Header=BB19_1083 Depth=1
	s_andn2_saveexec_b64 s[0:1], s[12:13]
; %bb.1118:                             ;   in Loop: Header=BB19_1083 Depth=1
	v_or_b32_sdwa v12, v14, s29 dst_sel:DWORD dst_unused:UNUSED_PAD src0_sel:BYTE_3 src1_sel:DWORD
; %bb.1119:                             ;   in Loop: Header=BB19_1083 Depth=1
	s_or_b64 exec, exec, s[0:1]
	v_lshlrev_b32_e32 v1, 16, v2
	v_div_scale_f32 v5, s[0:1], s33, s33, v1
	v_div_scale_f32 v13, vcc, v1, s33, v1
	v_rcp_f32_e32 v14, v5
	v_fma_f32 v15, -v5, v14, 1.0
	v_fmac_f32_e32 v14, v15, v14
	v_mul_f32_e32 v15, v13, v14
	v_fma_f32 v16, -v5, v15, v13
	v_fmac_f32_e32 v15, v16, v14
	v_fma_f32 v5, -v5, v15, v13
	v_div_fmas_f32 v5, v5, v14, v15
                                        ; implicit-def: $vgpr13_vgpr14
	v_div_fixup_f32 v15, v5, s33, v1
	v_and_b32_e32 v5, 0x7f800000, v15
	v_cmp_ne_u64_e32 vcc, s[6:7], v[5:6]
	s_and_saveexec_b64 s[0:1], vcc
	s_xor_b64 s[12:13], exec, s[0:1]
	s_cbranch_execz .LBB19_1135
; %bb.1120:                             ;   in Loop: Header=BB19_1083 Depth=1
	v_and_b32_e32 v5, 0x7fffffff, v15
	v_cmp_gt_u64_e32 vcc, s[8:9], v[5:6]
	v_and_b32_sdwa v1, v15, s25 dst_sel:DWORD dst_unused:UNUSED_PAD src0_sel:BYTE_3 src1_sel:DWORD
                                        ; implicit-def: $vgpr13_vgpr14
	s_and_saveexec_b64 s[0:1], vcc
	s_xor_b64 s[14:15], exec, s[0:1]
	s_cbranch_execz .LBB19_1132
; %bb.1121:                             ;   in Loop: Header=BB19_1083 Depth=1
	v_mov_b32_e32 v13, 0
	v_cmp_ne_u32_e32 vcc, 0, v15
	v_mov_b32_e32 v14, 0
	s_and_saveexec_b64 s[16:17], vcc
	s_cbranch_execz .LBB19_1131
; %bb.1122:                             ;   in Loop: Header=BB19_1083 Depth=1
	v_bfe_u32 v16, v15, 23, 8
	v_sub_u32_e32 v13, 0x79, v16
	v_cmp_gt_u32_e32 vcc, s28, v16
	v_cndmask_b32_e32 v13, 0, v13, vcc
	v_cmp_eq_u32_e32 vcc, 0, v16
	v_cndmask_b32_e32 v17, v13, v19, vcc
	v_and_b32_e32 v5, 0x7fffff, v15
	v_add_u32_e32 v13, 20, v17
	v_or_b32_e32 v15, 0x800000, v5
	v_lshlrev_b64 v[13:14], v13, -1
	v_cndmask_b32_e32 v5, v15, v5, vcc
	v_bfi_b32 v22, v13, 0, v5
	v_add_u32_e32 v13, 19, v17
	v_bfi_b32 v23, v14, 0, 0
	v_lshlrev_b64 v[24:25], v13, 1
	v_lshrrev_b64 v[13:14], v17, v[5:6]
	v_cmp_eq_u64_e64 s[0:1], v[22:23], v[24:25]
	v_mov_b32_e32 v15, v14
	v_mov_b32_e32 v14, v13
	s_and_saveexec_b64 s[18:19], s[0:1]
; %bb.1123:                             ;   in Loop: Header=BB19_1083 Depth=1
	v_bfe_u32 v5, v13, 20, 1
	v_add_co_u32_e64 v5, s[0:1], v13, v5
	v_add_co_u32_e64 v14, s[0:1], -1, v5
; %bb.1124:                             ;   in Loop: Header=BB19_1083 Depth=1
	s_or_b64 exec, exec, s[18:19]
	v_add_u32_e32 v5, 0xffffff81, v16
	v_cndmask_b32_e32 v5, v5, v20, vcc
	v_lshrrev_b32_e32 v15, 23, v13
	v_add3_u32 v16, v17, v5, v15
	v_add_u32_e32 v15, 6, v16
	v_and_b32_e32 v5, 0xfffff, v14
	v_add_u32_e32 v5, v5, v13
	v_cmp_ne_u32_e32 vcc, 0, v15
                                        ; implicit-def: $vgpr13_vgpr14
                                        ; implicit-def: $vgpr17
	s_and_saveexec_b64 s[0:1], vcc
	s_xor_b64 s[0:1], exec, s[0:1]
; %bb.1125:                             ;   in Loop: Header=BB19_1083 Depth=1
	v_cmp_lt_u64_e32 vcc, s[10:11], v[5:6]
	v_add_u32_e32 v13, 7, v16
	v_cndmask_b32_e32 v17, v15, v13, vcc
	v_cndmask_b32_e64 v13, 0, 1, vcc
	v_lshrrev_b64 v[13:14], v13, v[5:6]
; %bb.1126:                             ;   in Loop: Header=BB19_1083 Depth=1
	s_andn2_saveexec_b64 s[0:1], s[0:1]
; %bb.1127:                             ;   in Loop: Header=BB19_1083 Depth=1
	v_mov_b32_e32 v14, v6
	v_bfe_u32 v17, v5, 23, 1
	v_mov_b32_e32 v13, v5
; %bb.1128:                             ;   in Loop: Header=BB19_1083 Depth=1
	s_or_b64 exec, exec, s[0:1]
	v_lshrrev_b64 v[13:14], 20, v[13:14]
	v_cmp_gt_i32_e32 vcc, 16, v17
	v_cndmask_b32_e32 v16, 0, v14, vcc
	v_cndmask_b32_e32 v15, 7, v13, vcc
	v_cmp_ne_u64_e32 vcc, 0, v[15:16]
	v_cmp_ne_u32_e64 s[0:1], 0, v17
	v_mov_b32_e32 v14, v2
	s_or_b64 s[0:1], s[0:1], vcc
	v_mov_b32_e32 v13, v1
	s_and_saveexec_b64 s[18:19], s[0:1]
	s_xor_b64 s[0:1], exec, s[18:19]
; %bb.1129:                             ;   in Loop: Header=BB19_1083 Depth=1
	v_min_i32_e32 v5, 15, v17
	v_lshl_or_b32 v1, v5, 3, v1
	v_and_or_b32 v13, v15, 7, v1
; %bb.1130:                             ;   in Loop: Header=BB19_1083 Depth=1
	s_andn2_saveexec_b64 s[0:1], s[0:1]
	s_or_b64 exec, exec, s[0:1]
.LBB19_1131:                            ;   in Loop: Header=BB19_1083 Depth=1
	s_or_b64 exec, exec, s[16:17]
                                        ; implicit-def: $vgpr1
.LBB19_1132:                            ;   in Loop: Header=BB19_1083 Depth=1
	s_andn2_saveexec_b64 s[0:1], s[14:15]
; %bb.1133:                             ;   in Loop: Header=BB19_1083 Depth=1
	v_or_b32_e32 v13, 0x7e, v1
; %bb.1134:                             ;   in Loop: Header=BB19_1083 Depth=1
	s_or_b64 exec, exec, s[0:1]
                                        ; implicit-def: $vgpr15
.LBB19_1135:                            ;   in Loop: Header=BB19_1083 Depth=1
	s_andn2_saveexec_b64 s[0:1], s[12:13]
; %bb.1136:                             ;   in Loop: Header=BB19_1083 Depth=1
	v_or_b32_sdwa v13, v15, s29 dst_sel:DWORD dst_unused:UNUSED_PAD src0_sel:BYTE_3 src1_sel:DWORD
; %bb.1137:                             ;   in Loop: Header=BB19_1083 Depth=1
	s_or_b64 exec, exec, s[0:1]
	v_and_b32_e32 v1, 0xffff0000, v2
	v_div_scale_f32 v2, s[0:1], s33, s33, v1
	v_div_scale_f32 v5, vcc, v1, s33, v1
	v_rcp_f32_e32 v14, v2
	v_fma_f32 v15, -v2, v14, 1.0
	v_fmac_f32_e32 v14, v15, v14
	v_mul_f32_e32 v15, v5, v14
	v_fma_f32 v16, -v2, v15, v5
	v_fmac_f32_e32 v15, v16, v14
	v_fma_f32 v2, -v2, v15, v5
	v_div_fmas_f32 v2, v2, v14, v15
	v_div_fixup_f32 v15, v2, s33, v1
	v_and_b32_e32 v5, 0x7f800000, v15
	v_cmp_ne_u64_e32 vcc, s[6:7], v[5:6]
                                        ; implicit-def: $vgpr1_vgpr2
	s_and_saveexec_b64 s[0:1], vcc
	s_xor_b64 s[12:13], exec, s[0:1]
	s_cbranch_execz .LBB19_1153
; %bb.1138:                             ;   in Loop: Header=BB19_1083 Depth=1
	v_and_b32_e32 v5, 0x7fffffff, v15
	v_cmp_gt_u64_e32 vcc, s[8:9], v[5:6]
	v_and_b32_sdwa v14, v15, s25 dst_sel:DWORD dst_unused:UNUSED_PAD src0_sel:BYTE_3 src1_sel:DWORD
                                        ; implicit-def: $vgpr1_vgpr2
	s_and_saveexec_b64 s[0:1], vcc
	s_xor_b64 s[14:15], exec, s[0:1]
	s_cbranch_execz .LBB19_1150
; %bb.1139:                             ;   in Loop: Header=BB19_1083 Depth=1
	v_mov_b32_e32 v1, 0
	v_cmp_ne_u32_e32 vcc, 0, v15
	v_mov_b32_e32 v2, 0
	s_and_saveexec_b64 s[16:17], vcc
	s_cbranch_execz .LBB19_1149
; %bb.1140:                             ;   in Loop: Header=BB19_1083 Depth=1
	v_bfe_u32 v17, v15, 23, 8
	v_sub_u32_e32 v1, 0x79, v17
	v_cmp_gt_u32_e32 vcc, s28, v17
	v_cndmask_b32_e32 v1, 0, v1, vcc
	v_cmp_eq_u32_e32 vcc, 0, v17
	v_cndmask_b32_e32 v18, v1, v19, vcc
	v_and_b32_e32 v5, 0x7fffff, v15
	v_add_u32_e32 v1, 20, v18
	v_or_b32_e32 v15, 0x800000, v5
	v_lshlrev_b64 v[1:2], v1, -1
	v_cndmask_b32_e32 v5, v15, v5, vcc
	v_bfi_b32 v15, v1, 0, v5
	v_add_u32_e32 v1, 19, v18
	v_bfi_b32 v16, v2, 0, 0
	v_lshlrev_b64 v[22:23], v1, 1
	v_lshrrev_b64 v[1:2], v18, v[5:6]
	v_cmp_eq_u64_e64 s[0:1], v[15:16], v[22:23]
	v_mov_b32_e32 v16, v2
	v_mov_b32_e32 v15, v1
	s_and_saveexec_b64 s[18:19], s[0:1]
; %bb.1141:                             ;   in Loop: Header=BB19_1083 Depth=1
	v_bfe_u32 v2, v1, 20, 1
	v_add_co_u32_e64 v2, s[0:1], v1, v2
	v_add_co_u32_e64 v15, s[0:1], -1, v2
; %bb.1142:                             ;   in Loop: Header=BB19_1083 Depth=1
	s_or_b64 exec, exec, s[18:19]
	v_add_u32_e32 v2, 0xffffff81, v17
	v_cndmask_b32_e32 v2, v2, v20, vcc
	v_lshrrev_b32_e32 v5, 23, v1
	v_add3_u32 v18, v18, v2, v5
	v_add_u32_e32 v16, 6, v18
	v_and_b32_e32 v2, 0xfffff, v15
	v_add_u32_e32 v5, v2, v1
	v_cmp_ne_u32_e32 vcc, 0, v16
                                        ; implicit-def: $vgpr1_vgpr2
                                        ; implicit-def: $vgpr17
	s_and_saveexec_b64 s[0:1], vcc
	s_xor_b64 s[0:1], exec, s[0:1]
; %bb.1143:                             ;   in Loop: Header=BB19_1083 Depth=1
	v_cmp_lt_u64_e32 vcc, s[10:11], v[5:6]
	v_add_u32_e32 v1, 7, v18
	v_cndmask_b32_e32 v17, v16, v1, vcc
	v_cndmask_b32_e64 v1, 0, 1, vcc
	v_lshrrev_b64 v[1:2], v1, v[5:6]
; %bb.1144:                             ;   in Loop: Header=BB19_1083 Depth=1
	s_andn2_saveexec_b64 s[0:1], s[0:1]
; %bb.1145:                             ;   in Loop: Header=BB19_1083 Depth=1
	v_mov_b32_e32 v1, v5
	v_bfe_u32 v17, v5, 23, 1
	v_mov_b32_e32 v2, v6
; %bb.1146:                             ;   in Loop: Header=BB19_1083 Depth=1
	s_or_b64 exec, exec, s[0:1]
	v_lshrrev_b64 v[1:2], 20, v[1:2]
	v_cmp_gt_i32_e32 vcc, 16, v17
	v_cndmask_b32_e32 v16, 0, v2, vcc
	v_cndmask_b32_e32 v15, 7, v1, vcc
	v_cmp_ne_u64_e32 vcc, 0, v[15:16]
	v_cmp_ne_u32_e64 s[0:1], 0, v17
	s_or_b64 s[0:1], s[0:1], vcc
	v_mov_b32_e32 v1, v14
	v_mov_b32_e32 v2, v15
	s_and_saveexec_b64 s[18:19], s[0:1]
	s_xor_b64 s[0:1], exec, s[18:19]
; %bb.1147:                             ;   in Loop: Header=BB19_1083 Depth=1
	v_min_i32_e32 v1, 15, v17
	v_lshl_or_b32 v1, v1, 3, v14
	v_and_or_b32 v1, v15, 7, v1
; %bb.1148:                             ;   in Loop: Header=BB19_1083 Depth=1
	s_andn2_saveexec_b64 s[0:1], s[0:1]
	s_or_b64 exec, exec, s[0:1]
.LBB19_1149:                            ;   in Loop: Header=BB19_1083 Depth=1
	s_or_b64 exec, exec, s[16:17]
                                        ; implicit-def: $vgpr14
.LBB19_1150:                            ;   in Loop: Header=BB19_1083 Depth=1
	s_andn2_saveexec_b64 s[0:1], s[14:15]
; %bb.1151:                             ;   in Loop: Header=BB19_1083 Depth=1
	v_or_b32_e32 v1, 0x7e, v14
; %bb.1152:                             ;   in Loop: Header=BB19_1083 Depth=1
	s_or_b64 exec, exec, s[0:1]
                                        ; implicit-def: $vgpr15
.LBB19_1153:                            ;   in Loop: Header=BB19_1083 Depth=1
	s_andn2_saveexec_b64 s[0:1], s[12:13]
; %bb.1154:                             ;   in Loop: Header=BB19_1083 Depth=1
	v_or_b32_sdwa v1, v15, s29 dst_sel:DWORD dst_unused:UNUSED_PAD src0_sel:BYTE_3 src1_sel:DWORD
; %bb.1155:                             ;   in Loop: Header=BB19_1083 Depth=1
	s_or_b64 exec, exec, s[0:1]
	v_lshlrev_b32_e32 v2, 16, v3
	v_div_scale_f32 v5, s[0:1], s33, s33, v2
	v_div_scale_f32 v14, vcc, v2, s33, v2
	v_rcp_f32_e32 v15, v5
	v_fma_f32 v16, -v5, v15, 1.0
	v_fmac_f32_e32 v15, v16, v15
	v_mul_f32_e32 v16, v14, v15
	v_fma_f32 v17, -v5, v16, v14
	v_fmac_f32_e32 v16, v17, v15
	v_fma_f32 v5, -v5, v16, v14
	v_div_fmas_f32 v5, v5, v15, v16
                                        ; implicit-def: $vgpr14_vgpr15
	v_div_fixup_f32 v16, v5, s33, v2
	v_and_b32_e32 v5, 0x7f800000, v16
	v_cmp_ne_u64_e32 vcc, s[6:7], v[5:6]
	s_and_saveexec_b64 s[0:1], vcc
	s_xor_b64 s[12:13], exec, s[0:1]
	s_cbranch_execz .LBB19_1171
; %bb.1156:                             ;   in Loop: Header=BB19_1083 Depth=1
	v_and_b32_e32 v5, 0x7fffffff, v16
	v_cmp_gt_u64_e32 vcc, s[8:9], v[5:6]
	v_and_b32_sdwa v2, v16, s25 dst_sel:DWORD dst_unused:UNUSED_PAD src0_sel:BYTE_3 src1_sel:DWORD
                                        ; implicit-def: $vgpr14_vgpr15
	s_and_saveexec_b64 s[0:1], vcc
	s_xor_b64 s[14:15], exec, s[0:1]
	s_cbranch_execz .LBB19_1168
; %bb.1157:                             ;   in Loop: Header=BB19_1083 Depth=1
	v_mov_b32_e32 v14, 0
	v_cmp_ne_u32_e32 vcc, 0, v16
	v_mov_b32_e32 v15, 0
	s_and_saveexec_b64 s[16:17], vcc
	s_cbranch_execz .LBB19_1167
; %bb.1158:                             ;   in Loop: Header=BB19_1083 Depth=1
	v_bfe_u32 v17, v16, 23, 8
	v_sub_u32_e32 v14, 0x79, v17
	v_cmp_gt_u32_e32 vcc, s28, v17
	v_cndmask_b32_e32 v14, 0, v14, vcc
	v_cmp_eq_u32_e32 vcc, 0, v17
	v_cndmask_b32_e32 v18, v14, v19, vcc
	v_and_b32_e32 v5, 0x7fffff, v16
	v_add_u32_e32 v14, 20, v18
	v_or_b32_e32 v16, 0x800000, v5
	v_lshlrev_b64 v[14:15], v14, -1
	v_cndmask_b32_e32 v5, v16, v5, vcc
	v_bfi_b32 v22, v14, 0, v5
	v_add_u32_e32 v14, 19, v18
	v_bfi_b32 v23, v15, 0, 0
	v_lshlrev_b64 v[24:25], v14, 1
	v_lshrrev_b64 v[14:15], v18, v[5:6]
	v_cmp_eq_u64_e64 s[0:1], v[22:23], v[24:25]
	v_mov_b32_e32 v16, v15
	v_mov_b32_e32 v15, v14
	s_and_saveexec_b64 s[18:19], s[0:1]
; %bb.1159:                             ;   in Loop: Header=BB19_1083 Depth=1
	v_bfe_u32 v5, v14, 20, 1
	v_add_co_u32_e64 v5, s[0:1], v14, v5
	v_add_co_u32_e64 v15, s[0:1], -1, v5
; %bb.1160:                             ;   in Loop: Header=BB19_1083 Depth=1
	s_or_b64 exec, exec, s[18:19]
	v_add_u32_e32 v5, 0xffffff81, v17
	v_cndmask_b32_e32 v5, v5, v20, vcc
	v_lshrrev_b32_e32 v16, 23, v14
	v_add3_u32 v17, v18, v5, v16
	v_add_u32_e32 v16, 6, v17
	v_and_b32_e32 v5, 0xfffff, v15
	v_add_u32_e32 v5, v5, v14
	v_cmp_ne_u32_e32 vcc, 0, v16
                                        ; implicit-def: $vgpr14_vgpr15
                                        ; implicit-def: $vgpr18
	s_and_saveexec_b64 s[0:1], vcc
	s_xor_b64 s[0:1], exec, s[0:1]
; %bb.1161:                             ;   in Loop: Header=BB19_1083 Depth=1
	v_cmp_lt_u64_e32 vcc, s[10:11], v[5:6]
	v_add_u32_e32 v14, 7, v17
	v_cndmask_b32_e32 v18, v16, v14, vcc
	v_cndmask_b32_e64 v14, 0, 1, vcc
	v_lshrrev_b64 v[14:15], v14, v[5:6]
; %bb.1162:                             ;   in Loop: Header=BB19_1083 Depth=1
	s_andn2_saveexec_b64 s[0:1], s[0:1]
; %bb.1163:                             ;   in Loop: Header=BB19_1083 Depth=1
	v_mov_b32_e32 v15, v6
	v_bfe_u32 v18, v5, 23, 1
	v_mov_b32_e32 v14, v5
; %bb.1164:                             ;   in Loop: Header=BB19_1083 Depth=1
	s_or_b64 exec, exec, s[0:1]
	v_lshrrev_b64 v[14:15], 20, v[14:15]
	v_cmp_gt_i32_e32 vcc, 16, v18
	v_cndmask_b32_e32 v17, 0, v15, vcc
	v_cndmask_b32_e32 v16, 7, v14, vcc
	v_cmp_ne_u64_e32 vcc, 0, v[16:17]
	v_cmp_ne_u32_e64 s[0:1], 0, v18
	v_mov_b32_e32 v15, v3
	s_or_b64 s[0:1], s[0:1], vcc
	v_mov_b32_e32 v14, v2
	s_and_saveexec_b64 s[18:19], s[0:1]
	s_xor_b64 s[0:1], exec, s[18:19]
; %bb.1165:                             ;   in Loop: Header=BB19_1083 Depth=1
	v_min_i32_e32 v5, 15, v18
	v_lshl_or_b32 v2, v5, 3, v2
	v_and_or_b32 v14, v16, 7, v2
; %bb.1166:                             ;   in Loop: Header=BB19_1083 Depth=1
	s_andn2_saveexec_b64 s[0:1], s[0:1]
	s_or_b64 exec, exec, s[0:1]
.LBB19_1167:                            ;   in Loop: Header=BB19_1083 Depth=1
	s_or_b64 exec, exec, s[16:17]
                                        ; implicit-def: $vgpr2
.LBB19_1168:                            ;   in Loop: Header=BB19_1083 Depth=1
	s_andn2_saveexec_b64 s[0:1], s[14:15]
; %bb.1169:                             ;   in Loop: Header=BB19_1083 Depth=1
	v_or_b32_e32 v14, 0x7e, v2
; %bb.1170:                             ;   in Loop: Header=BB19_1083 Depth=1
	s_or_b64 exec, exec, s[0:1]
                                        ; implicit-def: $vgpr16
.LBB19_1171:                            ;   in Loop: Header=BB19_1083 Depth=1
	s_andn2_saveexec_b64 s[0:1], s[12:13]
; %bb.1172:                             ;   in Loop: Header=BB19_1083 Depth=1
	v_or_b32_sdwa v14, v16, s29 dst_sel:DWORD dst_unused:UNUSED_PAD src0_sel:BYTE_3 src1_sel:DWORD
; %bb.1173:                             ;   in Loop: Header=BB19_1083 Depth=1
	s_or_b64 exec, exec, s[0:1]
	v_and_b32_e32 v2, 0xffff0000, v3
	v_div_scale_f32 v3, s[0:1], s33, s33, v2
	v_div_scale_f32 v5, vcc, v2, s33, v2
	v_rcp_f32_e32 v15, v3
	v_fma_f32 v16, -v3, v15, 1.0
	v_fmac_f32_e32 v15, v16, v15
	v_mul_f32_e32 v16, v5, v15
	v_fma_f32 v17, -v3, v16, v5
	v_fmac_f32_e32 v16, v17, v15
	v_fma_f32 v3, -v3, v16, v5
	v_div_fmas_f32 v3, v3, v15, v16
	v_div_fixup_f32 v16, v3, s33, v2
	v_and_b32_e32 v5, 0x7f800000, v16
	v_cmp_ne_u64_e32 vcc, s[6:7], v[5:6]
                                        ; implicit-def: $vgpr2_vgpr3
	s_and_saveexec_b64 s[0:1], vcc
	s_xor_b64 s[12:13], exec, s[0:1]
	s_cbranch_execz .LBB19_1189
; %bb.1174:                             ;   in Loop: Header=BB19_1083 Depth=1
	v_and_b32_e32 v5, 0x7fffffff, v16
	v_cmp_gt_u64_e32 vcc, s[8:9], v[5:6]
	v_and_b32_sdwa v15, v16, s25 dst_sel:DWORD dst_unused:UNUSED_PAD src0_sel:BYTE_3 src1_sel:DWORD
                                        ; implicit-def: $vgpr2_vgpr3
	s_and_saveexec_b64 s[0:1], vcc
	s_xor_b64 s[14:15], exec, s[0:1]
	s_cbranch_execz .LBB19_1186
; %bb.1175:                             ;   in Loop: Header=BB19_1083 Depth=1
	v_mov_b32_e32 v2, 0
	v_cmp_ne_u32_e32 vcc, 0, v16
	v_mov_b32_e32 v3, 0
	s_and_saveexec_b64 s[16:17], vcc
	s_cbranch_execz .LBB19_1185
; %bb.1176:                             ;   in Loop: Header=BB19_1083 Depth=1
	v_bfe_u32 v18, v16, 23, 8
	v_sub_u32_e32 v2, 0x79, v18
	v_cmp_gt_u32_e32 vcc, s28, v18
	v_cndmask_b32_e32 v2, 0, v2, vcc
	v_cmp_eq_u32_e32 vcc, 0, v18
	v_cndmask_b32_e32 v22, v2, v19, vcc
	v_and_b32_e32 v5, 0x7fffff, v16
	v_add_u32_e32 v2, 20, v22
	v_or_b32_e32 v16, 0x800000, v5
	v_lshlrev_b64 v[2:3], v2, -1
	v_cndmask_b32_e32 v5, v16, v5, vcc
	v_bfi_b32 v16, v2, 0, v5
	v_add_u32_e32 v2, 19, v22
	v_bfi_b32 v17, v3, 0, 0
	v_lshlrev_b64 v[23:24], v2, 1
	v_lshrrev_b64 v[2:3], v22, v[5:6]
	v_cmp_eq_u64_e64 s[0:1], v[16:17], v[23:24]
	v_mov_b32_e32 v17, v3
	v_mov_b32_e32 v16, v2
	s_and_saveexec_b64 s[18:19], s[0:1]
; %bb.1177:                             ;   in Loop: Header=BB19_1083 Depth=1
	v_bfe_u32 v3, v2, 20, 1
	v_add_co_u32_e64 v3, s[0:1], v2, v3
	v_add_co_u32_e64 v16, s[0:1], -1, v3
; %bb.1178:                             ;   in Loop: Header=BB19_1083 Depth=1
	s_or_b64 exec, exec, s[18:19]
	v_add_u32_e32 v3, 0xffffff81, v18
	v_cndmask_b32_e32 v3, v3, v20, vcc
	v_lshrrev_b32_e32 v5, 23, v2
	v_add3_u32 v22, v22, v3, v5
	v_add_u32_e32 v17, 6, v22
	v_and_b32_e32 v3, 0xfffff, v16
	v_add_u32_e32 v5, v3, v2
	v_cmp_ne_u32_e32 vcc, 0, v17
                                        ; implicit-def: $vgpr2_vgpr3
                                        ; implicit-def: $vgpr18
	s_and_saveexec_b64 s[0:1], vcc
	s_xor_b64 s[0:1], exec, s[0:1]
; %bb.1179:                             ;   in Loop: Header=BB19_1083 Depth=1
	v_cmp_lt_u64_e32 vcc, s[10:11], v[5:6]
	v_add_u32_e32 v2, 7, v22
	v_cndmask_b32_e32 v18, v17, v2, vcc
	v_cndmask_b32_e64 v2, 0, 1, vcc
	v_lshrrev_b64 v[2:3], v2, v[5:6]
; %bb.1180:                             ;   in Loop: Header=BB19_1083 Depth=1
	s_andn2_saveexec_b64 s[0:1], s[0:1]
; %bb.1181:                             ;   in Loop: Header=BB19_1083 Depth=1
	v_mov_b32_e32 v2, v5
	v_bfe_u32 v18, v5, 23, 1
	v_mov_b32_e32 v3, v6
; %bb.1182:                             ;   in Loop: Header=BB19_1083 Depth=1
	s_or_b64 exec, exec, s[0:1]
	v_lshrrev_b64 v[2:3], 20, v[2:3]
	v_cmp_gt_i32_e32 vcc, 16, v18
	v_cndmask_b32_e32 v17, 0, v3, vcc
	v_cndmask_b32_e32 v16, 7, v2, vcc
	v_cmp_ne_u64_e32 vcc, 0, v[16:17]
	v_cmp_ne_u32_e64 s[0:1], 0, v18
	s_or_b64 s[0:1], s[0:1], vcc
	v_mov_b32_e32 v2, v15
	v_mov_b32_e32 v3, v16
	s_and_saveexec_b64 s[18:19], s[0:1]
	s_xor_b64 s[0:1], exec, s[18:19]
; %bb.1183:                             ;   in Loop: Header=BB19_1083 Depth=1
	v_min_i32_e32 v2, 15, v18
	v_lshl_or_b32 v2, v2, 3, v15
	v_and_or_b32 v2, v16, 7, v2
; %bb.1184:                             ;   in Loop: Header=BB19_1083 Depth=1
	s_andn2_saveexec_b64 s[0:1], s[0:1]
	s_or_b64 exec, exec, s[0:1]
.LBB19_1185:                            ;   in Loop: Header=BB19_1083 Depth=1
	s_or_b64 exec, exec, s[16:17]
                                        ; implicit-def: $vgpr15
.LBB19_1186:                            ;   in Loop: Header=BB19_1083 Depth=1
	s_andn2_saveexec_b64 s[0:1], s[14:15]
; %bb.1187:                             ;   in Loop: Header=BB19_1083 Depth=1
	v_or_b32_e32 v2, 0x7e, v15
; %bb.1188:                             ;   in Loop: Header=BB19_1083 Depth=1
	s_or_b64 exec, exec, s[0:1]
                                        ; implicit-def: $vgpr16
.LBB19_1189:                            ;   in Loop: Header=BB19_1083 Depth=1
	s_andn2_saveexec_b64 s[0:1], s[12:13]
; %bb.1190:                             ;   in Loop: Header=BB19_1083 Depth=1
	v_or_b32_sdwa v2, v16, s29 dst_sel:DWORD dst_unused:UNUSED_PAD src0_sel:BYTE_3 src1_sel:DWORD
; %bb.1191:                             ;   in Loop: Header=BB19_1083 Depth=1
	s_or_b64 exec, exec, s[0:1]
	v_lshlrev_b32_e32 v3, 16, v4
	v_div_scale_f32 v5, s[0:1], s33, s33, v3
	v_div_scale_f32 v15, vcc, v3, s33, v3
	v_rcp_f32_e32 v16, v5
	v_fma_f32 v17, -v5, v16, 1.0
	v_fmac_f32_e32 v16, v17, v16
	v_mul_f32_e32 v17, v15, v16
	v_fma_f32 v18, -v5, v17, v15
	v_fmac_f32_e32 v17, v18, v16
	v_fma_f32 v5, -v5, v17, v15
	v_div_fmas_f32 v5, v5, v16, v17
                                        ; implicit-def: $vgpr15_vgpr16
	v_div_fixup_f32 v17, v5, s33, v3
	v_and_b32_e32 v5, 0x7f800000, v17
	v_cmp_ne_u64_e32 vcc, s[6:7], v[5:6]
	s_and_saveexec_b64 s[0:1], vcc
	s_xor_b64 s[12:13], exec, s[0:1]
	s_cbranch_execz .LBB19_1207
; %bb.1192:                             ;   in Loop: Header=BB19_1083 Depth=1
	v_and_b32_e32 v5, 0x7fffffff, v17
	v_cmp_gt_u64_e32 vcc, s[8:9], v[5:6]
	v_and_b32_sdwa v3, v17, s25 dst_sel:DWORD dst_unused:UNUSED_PAD src0_sel:BYTE_3 src1_sel:DWORD
                                        ; implicit-def: $vgpr15_vgpr16
	s_and_saveexec_b64 s[0:1], vcc
	s_xor_b64 s[14:15], exec, s[0:1]
	s_cbranch_execz .LBB19_1204
; %bb.1193:                             ;   in Loop: Header=BB19_1083 Depth=1
	v_mov_b32_e32 v15, 0
	v_cmp_ne_u32_e32 vcc, 0, v17
	v_mov_b32_e32 v16, 0
	s_and_saveexec_b64 s[16:17], vcc
	s_cbranch_execz .LBB19_1203
; %bb.1194:                             ;   in Loop: Header=BB19_1083 Depth=1
	v_bfe_u32 v18, v17, 23, 8
	v_sub_u32_e32 v15, 0x79, v18
	v_cmp_gt_u32_e32 vcc, s28, v18
	v_cndmask_b32_e32 v15, 0, v15, vcc
	v_cmp_eq_u32_e32 vcc, 0, v18
	v_cndmask_b32_e32 v22, v15, v19, vcc
	v_and_b32_e32 v5, 0x7fffff, v17
	v_add_u32_e32 v15, 20, v22
	v_or_b32_e32 v17, 0x800000, v5
	v_lshlrev_b64 v[15:16], v15, -1
	v_cndmask_b32_e32 v5, v17, v5, vcc
	v_bfi_b32 v23, v15, 0, v5
	v_add_u32_e32 v15, 19, v22
	v_bfi_b32 v24, v16, 0, 0
	v_lshlrev_b64 v[25:26], v15, 1
	v_lshrrev_b64 v[15:16], v22, v[5:6]
	v_cmp_eq_u64_e64 s[0:1], v[23:24], v[25:26]
	v_mov_b32_e32 v17, v16
	v_mov_b32_e32 v16, v15
	s_and_saveexec_b64 s[18:19], s[0:1]
; %bb.1195:                             ;   in Loop: Header=BB19_1083 Depth=1
	v_bfe_u32 v5, v15, 20, 1
	v_add_co_u32_e64 v5, s[0:1], v15, v5
	v_add_co_u32_e64 v16, s[0:1], -1, v5
; %bb.1196:                             ;   in Loop: Header=BB19_1083 Depth=1
	s_or_b64 exec, exec, s[18:19]
	v_add_u32_e32 v5, 0xffffff81, v18
	v_cndmask_b32_e32 v5, v5, v20, vcc
	v_lshrrev_b32_e32 v17, 23, v15
	v_add3_u32 v18, v22, v5, v17
	v_add_u32_e32 v17, 6, v18
	v_and_b32_e32 v5, 0xfffff, v16
	v_add_u32_e32 v5, v5, v15
	v_cmp_ne_u32_e32 vcc, 0, v17
                                        ; implicit-def: $vgpr15_vgpr16
                                        ; implicit-def: $vgpr22
	s_and_saveexec_b64 s[0:1], vcc
	s_xor_b64 s[0:1], exec, s[0:1]
; %bb.1197:                             ;   in Loop: Header=BB19_1083 Depth=1
	v_cmp_lt_u64_e32 vcc, s[10:11], v[5:6]
	v_add_u32_e32 v15, 7, v18
	v_cndmask_b32_e32 v22, v17, v15, vcc
	v_cndmask_b32_e64 v15, 0, 1, vcc
	v_lshrrev_b64 v[15:16], v15, v[5:6]
; %bb.1198:                             ;   in Loop: Header=BB19_1083 Depth=1
	s_andn2_saveexec_b64 s[0:1], s[0:1]
; %bb.1199:                             ;   in Loop: Header=BB19_1083 Depth=1
	v_mov_b32_e32 v16, v6
	v_bfe_u32 v22, v5, 23, 1
	v_mov_b32_e32 v15, v5
; %bb.1200:                             ;   in Loop: Header=BB19_1083 Depth=1
	s_or_b64 exec, exec, s[0:1]
	v_lshrrev_b64 v[15:16], 20, v[15:16]
	v_cmp_gt_i32_e32 vcc, 16, v22
	v_cndmask_b32_e32 v18, 0, v16, vcc
	v_cndmask_b32_e32 v17, 7, v15, vcc
	v_cmp_ne_u64_e32 vcc, 0, v[17:18]
	v_cmp_ne_u32_e64 s[0:1], 0, v22
	v_mov_b32_e32 v16, v4
	s_or_b64 s[0:1], s[0:1], vcc
	v_mov_b32_e32 v15, v3
	s_and_saveexec_b64 s[18:19], s[0:1]
	s_xor_b64 s[0:1], exec, s[18:19]
; %bb.1201:                             ;   in Loop: Header=BB19_1083 Depth=1
	v_min_i32_e32 v5, 15, v22
	v_lshl_or_b32 v3, v5, 3, v3
	v_and_or_b32 v15, v17, 7, v3
; %bb.1202:                             ;   in Loop: Header=BB19_1083 Depth=1
	s_andn2_saveexec_b64 s[0:1], s[0:1]
	s_or_b64 exec, exec, s[0:1]
.LBB19_1203:                            ;   in Loop: Header=BB19_1083 Depth=1
	s_or_b64 exec, exec, s[16:17]
                                        ; implicit-def: $vgpr3
.LBB19_1204:                            ;   in Loop: Header=BB19_1083 Depth=1
	s_andn2_saveexec_b64 s[0:1], s[14:15]
; %bb.1205:                             ;   in Loop: Header=BB19_1083 Depth=1
	v_or_b32_e32 v15, 0x7e, v3
; %bb.1206:                             ;   in Loop: Header=BB19_1083 Depth=1
	s_or_b64 exec, exec, s[0:1]
                                        ; implicit-def: $vgpr17
.LBB19_1207:                            ;   in Loop: Header=BB19_1083 Depth=1
	s_andn2_saveexec_b64 s[0:1], s[12:13]
; %bb.1208:                             ;   in Loop: Header=BB19_1083 Depth=1
	v_or_b32_sdwa v15, v17, s29 dst_sel:DWORD dst_unused:UNUSED_PAD src0_sel:BYTE_3 src1_sel:DWORD
; %bb.1209:                             ;   in Loop: Header=BB19_1083 Depth=1
	s_or_b64 exec, exec, s[0:1]
	v_and_b32_e32 v3, 0xffff0000, v4
	v_div_scale_f32 v4, s[0:1], s33, s33, v3
	v_div_scale_f32 v5, vcc, v3, s33, v3
	v_rcp_f32_e32 v16, v4
	v_fma_f32 v17, -v4, v16, 1.0
	v_fmac_f32_e32 v16, v17, v16
	v_mul_f32_e32 v17, v5, v16
	v_fma_f32 v18, -v4, v17, v5
	v_fmac_f32_e32 v17, v18, v16
	v_fma_f32 v4, -v4, v17, v5
	v_div_fmas_f32 v4, v4, v16, v17
	v_div_fixup_f32 v16, v4, s33, v3
	v_and_b32_e32 v5, 0x7f800000, v16
	v_cmp_ne_u64_e32 vcc, s[6:7], v[5:6]
                                        ; implicit-def: $vgpr4_vgpr5
	s_and_saveexec_b64 s[0:1], vcc
	s_xor_b64 s[12:13], exec, s[0:1]
	s_cbranch_execz .LBB19_1225
; %bb.1210:                             ;   in Loop: Header=BB19_1083 Depth=1
	v_and_b32_e32 v5, 0x7fffffff, v16
	v_cmp_gt_u64_e32 vcc, s[8:9], v[5:6]
	v_and_b32_sdwa v3, v16, s25 dst_sel:DWORD dst_unused:UNUSED_PAD src0_sel:BYTE_3 src1_sel:DWORD
                                        ; implicit-def: $vgpr4_vgpr5
	s_and_saveexec_b64 s[0:1], vcc
	s_xor_b64 s[14:15], exec, s[0:1]
	s_cbranch_execz .LBB19_1222
; %bb.1211:                             ;   in Loop: Header=BB19_1083 Depth=1
	v_mov_b32_e32 v4, 0
	v_cmp_ne_u32_e32 vcc, 0, v16
	v_mov_b32_e32 v5, 0
	s_and_saveexec_b64 s[16:17], vcc
	s_cbranch_execz .LBB19_1221
; %bb.1212:                             ;   in Loop: Header=BB19_1083 Depth=1
	v_bfe_u32 v18, v16, 23, 8
	v_sub_u32_e32 v5, 0x79, v18
	v_cmp_gt_u32_e32 vcc, s28, v18
	v_cndmask_b32_e32 v5, 0, v5, vcc
	v_cmp_eq_u32_e32 vcc, 0, v18
	v_cndmask_b32_e32 v22, v5, v19, vcc
	v_and_b32_e32 v4, 0x7fffff, v16
	v_add_u32_e32 v5, 20, v22
	v_or_b32_e32 v23, 0x800000, v4
	v_lshlrev_b64 v[16:17], v5, -1
	v_cndmask_b32_e32 v5, v23, v4, vcc
	v_add_u32_e32 v4, 19, v22
	v_bfi_b32 v16, v16, 0, v5
	v_lshlrev_b64 v[23:24], v4, 1
	v_lshrrev_b64 v[4:5], v22, v[5:6]
	v_bfi_b32 v17, v17, 0, 0
	v_cmp_eq_u64_e64 s[0:1], v[16:17], v[23:24]
	v_mov_b32_e32 v17, v5
	v_mov_b32_e32 v16, v4
	s_and_saveexec_b64 s[18:19], s[0:1]
; %bb.1213:                             ;   in Loop: Header=BB19_1083 Depth=1
	v_bfe_u32 v5, v4, 20, 1
	v_add_co_u32_e64 v5, s[0:1], v4, v5
	v_add_co_u32_e64 v16, s[0:1], -1, v5
; %bb.1214:                             ;   in Loop: Header=BB19_1083 Depth=1
	s_or_b64 exec, exec, s[18:19]
	v_add_u32_e32 v5, 0xffffff81, v18
	v_cndmask_b32_e32 v5, v5, v20, vcc
	v_lshrrev_b32_e32 v17, 23, v4
	v_add3_u32 v23, v22, v5, v17
	v_add_u32_e32 v22, 6, v23
	v_and_b32_e32 v5, 0xfffff, v16
	v_add_u32_e32 v5, v5, v4
	v_cmp_ne_u32_e32 vcc, 0, v22
                                        ; implicit-def: $vgpr16_vgpr17
                                        ; implicit-def: $vgpr18
	s_and_saveexec_b64 s[0:1], vcc
	s_xor_b64 s[0:1], exec, s[0:1]
; %bb.1215:                             ;   in Loop: Header=BB19_1083 Depth=1
	v_cmp_lt_u64_e32 vcc, s[10:11], v[5:6]
	v_add_u32_e32 v4, 7, v23
	v_cndmask_b32_e32 v18, v22, v4, vcc
	v_cndmask_b32_e64 v4, 0, 1, vcc
	v_lshrrev_b64 v[16:17], v4, v[5:6]
; %bb.1216:                             ;   in Loop: Header=BB19_1083 Depth=1
	s_andn2_saveexec_b64 s[0:1], s[0:1]
; %bb.1217:                             ;   in Loop: Header=BB19_1083 Depth=1
	v_mov_b32_e32 v17, v6
	v_bfe_u32 v18, v5, 23, 1
	v_mov_b32_e32 v16, v5
; %bb.1218:                             ;   in Loop: Header=BB19_1083 Depth=1
	s_or_b64 exec, exec, s[0:1]
	v_lshrrev_b64 v[4:5], 20, v[16:17]
	v_cmp_gt_i32_e32 vcc, 16, v18
	v_cndmask_b32_e32 v17, 0, v5, vcc
	v_cndmask_b32_e32 v16, 7, v4, vcc
	v_cmp_ne_u64_e32 vcc, 0, v[16:17]
	v_cmp_ne_u32_e64 s[0:1], 0, v18
	v_mov_b32_e32 v5, v4
	s_or_b64 s[0:1], s[0:1], vcc
	v_mov_b32_e32 v4, v3
	s_and_saveexec_b64 s[18:19], s[0:1]
	s_xor_b64 s[0:1], exec, s[18:19]
; %bb.1219:                             ;   in Loop: Header=BB19_1083 Depth=1
	v_min_i32_e32 v4, 15, v18
	v_lshl_or_b32 v3, v4, 3, v3
	v_and_or_b32 v4, v16, 7, v3
; %bb.1220:                             ;   in Loop: Header=BB19_1083 Depth=1
	s_andn2_saveexec_b64 s[0:1], s[0:1]
	s_or_b64 exec, exec, s[0:1]
.LBB19_1221:                            ;   in Loop: Header=BB19_1083 Depth=1
	s_or_b64 exec, exec, s[16:17]
                                        ; implicit-def: $vgpr3
.LBB19_1222:                            ;   in Loop: Header=BB19_1083 Depth=1
	s_andn2_saveexec_b64 s[0:1], s[14:15]
; %bb.1223:                             ;   in Loop: Header=BB19_1083 Depth=1
	v_or_b32_e32 v4, 0x7e, v3
; %bb.1224:                             ;   in Loop: Header=BB19_1083 Depth=1
	s_or_b64 exec, exec, s[0:1]
                                        ; implicit-def: $vgpr16
.LBB19_1225:                            ;   in Loop: Header=BB19_1083 Depth=1
	s_andn2_saveexec_b64 s[0:1], s[12:13]
	s_cbranch_execz .LBB19_1082
; %bb.1226:                             ;   in Loop: Header=BB19_1083 Depth=1
	v_or_b32_sdwa v4, v16, s29 dst_sel:DWORD dst_unused:UNUSED_PAD src0_sel:BYTE_3 src1_sel:DWORD
	s_branch .LBB19_1082
.LBB19_1227:
	s_or_b64 exec, exec, s[2:3]
	v_lshl_add_u32 v1, s20, 3, v0
	v_cmp_gt_i32_e32 vcc, s40, v1
	s_and_saveexec_b64 s[24:25], vcc
	s_cbranch_execz .LBB19_1255
; %bb.1228:
	v_add_u32_e32 v2, 1, v1
	v_max_i32_e32 v2, s40, v2
	s_and_b32 s0, s62, 0xffff
	v_sub_u32_e32 v11, v2, v1
	s_cmp_eq_u32 s0, 1
	v_cmp_lt_u32_e32 vcc, 1, v11
	s_cselect_b64 s[0:1], -1, 0
	s_and_b64 s[2:3], vcc, s[0:1]
	s_mov_b64 s[0:1], -1
	s_and_saveexec_b64 s[28:29], s[2:3]
	s_cbranch_execz .LBB19_1232
; %bb.1229:
	s_lshl_b64 s[0:1], s[22:23], 1
	s_add_u32 s41, s67, s0
	s_addc_u32 s0, s68, s1
	s_add_u32 s42, s69, s22
	s_addc_u32 s1, s70, s23
	v_and_b32_e32 v12, -2, v11
	s_mov_b32 s43, s33
	s_mov_b64 s[36:37], 0
	v_mov_b32_e32 v13, s1
	v_mov_b32_e32 v14, s0
	s_movk_i32 s44, 0x80
	s_mov_b32 s45, 0x7f800000
	s_mov_b32 s46, 0x43e00001
	s_movk_i32 s47, 0xff81
	s_movk_i32 s49, 0x7a
	;; [unrolled: 1-line block ×3, first 2 shown]
	v_mov_b32_e32 v15, 0xffffff82
	v_mov_b32_e32 v16, 0x78
	;; [unrolled: 1-line block ×3, first 2 shown]
	s_mov_b64 s[38:39], 0xffffff
	s_movk_i32 s51, 0x7f
	v_mov_b32_e32 v4, v1
	v_mov_b32_e32 v17, v12
.LBB19_1230:                            ; =>This Inner Loop Header: Depth=1
	v_ashrrev_i32_e32 v5, 31, v4
	v_add_co_u32_e32 v9, vcc, s42, v4
	v_lshlrev_b64 v[18:19], 1, v[4:5]
	v_addc_co_u32_e32 v10, vcc, v13, v5, vcc
	v_add_co_u32_e32 v18, vcc, s41, v18
	v_addc_co_u32_e32 v19, vcc, v14, v19, vcc
	global_load_dword v2, v[18:19], off
	v_mov_b32_e32 v6, v3
	v_mov_b32_e32 v7, v3
	;; [unrolled: 1-line block ×3, first 2 shown]
	v_add_u32_e32 v17, -2, v17
	v_cmp_eq_u32_e64 s[0:1], 0, v17
	v_add_u32_e32 v4, 2, v4
	s_waitcnt vmcnt(0)
	v_lshlrev_b32_e32 v5, 16, v2
	v_and_b32_e32 v2, 0xffff0000, v2
	v_div_scale_f32 v18, s[2:3], s43, s43, v2
	v_div_scale_f32 v19, s[2:3], s33, s33, v5
	v_div_scale_f32 v20, vcc, v2, s43, v2
	v_div_scale_f32 v21, s[2:3], v5, s33, v5
	v_rcp_f32_e32 v22, v18
	v_rcp_f32_e32 v23, v19
	v_fma_f32 v24, -v18, v22, 1.0
	v_fmac_f32_e32 v22, v24, v22
	v_fma_f32 v25, -v19, v23, 1.0
	v_fmac_f32_e32 v23, v25, v23
	v_mul_f32_e32 v24, v20, v22
	v_mul_f32_e32 v25, v21, v23
	v_fma_f32 v26, -v18, v24, v20
	v_fma_f32 v27, -v19, v25, v21
	v_fmac_f32_e32 v24, v26, v22
	v_fmac_f32_e32 v25, v27, v23
	v_fma_f32 v18, -v18, v24, v20
	v_fma_f32 v19, -v19, v25, v21
	v_div_fmas_f32 v18, v18, v22, v24
	s_mov_b64 vcc, s[2:3]
	v_div_fmas_f32 v19, v19, v23, v25
	v_div_fixup_f32 v2, v18, s43, v2
	v_lshrrev_b32_e32 v20, 23, v2
	v_div_fixup_f32 v5, v19, s33, v5
	v_and_b32_e32 v19, 0x7fffff, v2
	v_lshrrev_b32_e32 v23, 23, v5
	v_sub_u32_sdwa v25, s50, v20 dst_sel:DWORD dst_unused:UNUSED_PAD src0_sel:DWORD src1_sel:BYTE_0
	v_cmp_lt_u32_sdwa s[8:9], v20, s49 src0_sel:BYTE_0 src1_sel:DWORD
	v_and_b32_e32 v21, 0x7f800000, v2
	v_and_b32_e32 v22, 0x7fffffff, v2
	v_add_u32_sdwa v24, v20, s47 dst_sel:DWORD dst_unused:UNUSED_PAD src0_sel:BYTE_0 src1_sel:DWORD
	v_cmp_eq_u32_sdwa s[14:15], v20, v3 src0_sel:BYTE_0 src1_sel:DWORD
	v_or_b32_e32 v20, 0x800000, v19
	v_sub_u32_sdwa v27, s50, v23 dst_sel:DWORD dst_unused:UNUSED_PAD src0_sel:DWORD src1_sel:BYTE_0
	v_cndmask_b32_e64 v25, 0, v25, s[8:9]
	v_cmp_lt_u32_sdwa s[20:21], v23, s49 src0_sel:BYTE_0 src1_sel:DWORD
	v_and_b32_sdwa v29, v2, s44 dst_sel:DWORD dst_unused:UNUSED_PAD src0_sel:BYTE_3 src1_sel:DWORD
	v_cmp_eq_u32_e32 vcc, 0, v2
	v_cmp_ne_u32_e64 s[12:13], 0, v2
	v_or_b32_sdwa v18, v2, s51 dst_sel:DWORD dst_unused:UNUSED_PAD src0_sel:BYTE_3 src1_sel:DWORD
	v_and_b32_e32 v2, 0x7fffff, v5
	v_cmp_gt_u32_e64 s[4:5], s46, v22
	v_and_b32_sdwa v31, v5, s44 dst_sel:DWORD dst_unused:UNUSED_PAD src0_sel:BYTE_3 src1_sel:DWORD
	v_and_b32_e32 v22, 0x7f800000, v5
	v_cmp_ne_u32_e64 s[2:3], s45, v21
	v_and_b32_e32 v21, 0x7fffffff, v5
	v_cmp_eq_u32_e64 s[6:7], 0, v5
	v_cmp_ne_u32_e64 s[16:17], 0, v5
	v_or_b32_sdwa v32, v5, s51 dst_sel:DWORD dst_unused:UNUSED_PAD src0_sel:BYTE_3 src1_sel:DWORD
	v_cmp_eq_u32_sdwa s[18:19], v23, v3 src0_sel:BYTE_0 src1_sel:DWORD
	v_cndmask_b32_e64 v5, v20, v19, s[14:15]
	v_cndmask_b32_e64 v19, 0, v27, s[20:21]
	;; [unrolled: 1-line block ×3, first 2 shown]
	v_or_b32_e32 v28, 0x800000, v2
	v_cmp_gt_u32_e64 s[10:11], s46, v21
	v_cndmask_b32_e64 v37, v19, v16, s[18:19]
	v_add_u32_e32 v21, 20, v36
	v_lshrrev_b64 v[19:20], v36, v[5:6]
	v_cmp_ne_u32_e64 s[8:9], s45, v22
	v_cndmask_b32_e64 v2, v28, v2, s[18:19]
	v_add_u32_e32 v22, 19, v36
	v_lshlrev_b64 v[20:21], v21, -1
	v_add_u32_sdwa v26, v23, s47 dst_sel:DWORD dst_unused:UNUSED_PAD src0_sel:BYTE_0 src1_sel:DWORD
	v_cndmask_b32_e64 v33, v24, v15, s[14:15]
	v_lshlrev_b64 v[22:23], v22, 1
	v_add_u32_e32 v6, 20, v37
	v_lshrrev_b64 v[24:25], v37, v[2:3]
	v_cndmask_b32_e64 v35, v26, v15, s[18:19]
	v_add_u32_e32 v27, 19, v37
	v_lshlrev_b64 v[25:26], v6, -1
	v_bfi_b32 v6, v21, 0, 0
	v_bfi_b32 v5, v20, 0, v5
	v_lshlrev_b64 v[27:28], v27, 1
	v_cmp_ne_u64_e64 s[14:15], v[5:6], v[22:23]
	s_and_b64 s[52:53], s[2:3], s[4:5]
	v_lshrrev_b32_e32 v38, 23, v19
	v_bfi_b32 v6, v26, 0, 0
	v_bfi_b32 v5, v25, 0, v2
	s_and_b64 s[54:55], s[52:53], s[12:13]
	v_bfe_u32 v39, v19, 20, 1
	v_add3_u32 v20, v36, v33, v38
	v_lshrrev_b32_e32 v33, 23, v24
	v_cmp_ne_u64_e64 s[18:19], v[5:6], v[27:28]
	s_and_b64 s[12:13], s[12:13], s[14:15]
	v_add3_u32 v21, v19, v39, -1
	v_add3_u32 v2, v37, v35, v33
	s_and_b64 s[12:13], s[12:13], s[4:5]
	v_bfe_u32 v36, v24, 20, 1
	v_add_u32_e32 v5, 6, v2
	v_add_u32_e32 v25, 7, v2
	v_cndmask_b32_e64 v2, v21, v19, s[12:13]
	s_and_b64 s[12:13], s[16:17], s[18:19]
	v_add3_u32 v22, v24, v36, -1
	v_and_b32_e32 v2, 0xfffff, v2
	s_and_b64 s[12:13], s[12:13], s[10:11]
	v_cndmask_b32_e64 v21, v22, v24, s[12:13]
	v_add_u32_e32 v6, v2, v19
	v_and_b32_e32 v2, 0xfffff, v21
	v_cmp_lt_u64_e64 s[12:13], s[38:39], v[6:7]
	s_and_b64 s[20:21], s[8:9], s[10:11]
	v_add_u32_e32 v23, 6, v20
	v_add_u32_e32 v20, 7, v20
	;; [unrolled: 1-line block ×3, first 2 shown]
	s_and_b64 s[56:57], s[20:21], s[16:17]
	v_cndmask_b32_e64 v19, v23, v20, s[12:13]
	v_lshrrev_b32_e32 v20, 23, v6
	v_cmp_ne_u32_e64 s[14:15], 0, v23
	v_cmp_lt_u64_e64 s[16:17], s[38:39], v[2:3]
	v_and_b32_e32 v20, 1, v20
	v_lshrrev_b32_e32 v22, 23, v2
	s_and_b64 s[12:13], s[14:15], s[12:13]
	v_cndmask_b32_e64 v21, v5, v25, s[16:17]
	v_and_b32_e32 v22, 1, v22
	v_cndmask_b32_e64 v19, v20, v19, s[14:15]
	v_cndmask_b32_e64 v20, 0, 1, s[12:13]
	v_cmp_ne_u32_e64 s[12:13], 0, v5
	v_cndmask_b32_e64 v21, v22, v21, s[12:13]
	v_lshrrev_b64 v[5:6], v20, v[6:7]
	s_and_b64 s[12:13], s[12:13], s[16:17]
	v_cndmask_b32_e64 v6, 0, 1, s[12:13]
	v_cmp_eq_u32_e64 s[12:13], 0, v19
	v_lshrrev_b64 v[6:7], v6, v[2:3]
	v_min_i32_e32 v20, 15, v19
	v_min_i32_e32 v2, 15, v21
	s_and_b64 s[16:17], s[54:55], s[12:13]
	v_lshrrev_b32_e32 v5, 20, v5
	v_cmp_gt_i32_e64 s[12:13], 16, v19
	v_lshlrev_b32_e32 v7, 3, v20
	v_lshlrev_b32_e32 v19, 3, v2
	v_lshrrev_b32_e32 v6, 20, v6
	v_cndmask_b32_e64 v2, 7, v5, s[12:13]
	v_cmp_gt_i32_e64 s[12:13], 16, v21
	v_cmp_eq_u32_e64 s[14:15], 0, v21
	v_or_b32_e32 v20, v7, v29
	v_cndmask_b32_e64 v7, 7, v6, s[12:13]
	v_cmp_eq_u64_e64 s[12:13], 0, v[2:3]
	s_and_b64 s[18:19], s[56:57], s[14:15]
	v_cmp_eq_u64_e64 s[14:15], 0, v[7:8]
	v_or_b32_e32 v5, v19, v31
	v_and_or_b32 v2, v2, 7, v20
	s_and_b64 s[12:13], s[16:17], s[12:13]
	v_and_or_b32 v5, v7, 7, v5
	v_cndmask_b32_e64 v2, v2, v29, s[12:13]
	s_and_b64 s[12:13], s[52:53], vcc
	s_and_b64 vcc, s[18:19], s[14:15]
	v_or_b32_e32 v30, 0x7e, v29
	v_cndmask_b32_e32 v5, v5, v31, vcc
	v_cndmask_b32_e64 v2, v2, 0, s[12:13]
	s_and_b64 s[6:7], s[20:21], s[6:7]
	v_or_b32_e32 v34, 0x7e, v31
	v_cndmask_b32_e64 v5, v5, 0, s[6:7]
	v_cndmask_b32_e64 v2, v30, v2, s[4:5]
	v_cndmask_b32_e64 v5, v34, v5, s[10:11]
	v_cndmask_b32_e64 v2, v18, v2, s[2:3]
	v_lshlrev_b16_e32 v2, 8, v2
	v_cndmask_b32_e64 v5, v32, v5, s[8:9]
	s_or_b64 s[36:37], s[0:1], s[36:37]
	v_or_b32_sdwa v2, v5, v2 dst_sel:DWORD dst_unused:UNUSED_PAD src0_sel:BYTE_0 src1_sel:DWORD
	global_store_short v[9:10], v2, off
	s_andn2_b64 exec, exec, s[36:37]
	s_cbranch_execnz .LBB19_1230
; %bb.1231:
	s_or_b64 exec, exec, s[36:37]
	v_cmp_ne_u32_e32 vcc, v11, v12
	v_add_u32_e32 v1, v1, v12
	s_orn2_b64 s[0:1], vcc, exec
.LBB19_1232:
	s_or_b64 exec, exec, s[28:29]
	s_and_b64 exec, exec, s[0:1]
	s_cbranch_execz .LBB19_1255
; %bb.1233:
	s_lshl_b64 s[0:1], s[22:23], 1
	s_add_u32 s0, s34, s0
	s_addc_u32 s1, s35, s1
	v_ashrrev_i32_e32 v2, 31, v1
	v_lshlrev_b64 v[4:5], 1, v[1:2]
	s_add_u32 s0, s26, s0
	s_addc_u32 s1, s27, s1
	s_lshl_b32 s20, s62, 1
	v_add_co_u32_e32 v4, vcc, s0, v4
	s_add_u32 s0, s22, s64
	v_mov_b32_e32 v6, s1
	s_addc_u32 s1, s23, s63
	s_add_u32 s0, s0, s66
	s_addc_u32 s1, s1, s65
	s_add_u32 s0, s30, s0
	v_addc_co_u32_e32 v5, vcc, v6, v5, vcc
	s_addc_u32 s1, s31, s1
	v_mov_b32_e32 v6, s1
	v_add_co_u32_e32 v9, vcc, s0, v1
	v_mov_b32_e32 v3, 0
	v_addc_co_u32_e32 v10, vcc, v6, v2, vcc
	s_mov_b64 s[2:3], 0
	s_mov_b64 s[4:5], 0x7f800000
	s_movk_i32 s21, 0x80
	s_mov_b64 s[6:7], 0x43e00001
	s_movk_i32 s22, 0x7a
	;; [unrolled: 2-line block ×3, first 2 shown]
	v_mov_b32_e32 v11, 0x78
	v_mov_b32_e32 v12, 0xffffff82
	s_mov_b64 s[10:11], 0
	s_branch .LBB19_1235
.LBB19_1234:                            ;   in Loop: Header=BB19_1235 Depth=1
	s_or_b64 exec, exec, s[0:1]
	v_mov_b32_e32 v7, s11
	v_add_co_u32_e32 v6, vcc, s10, v9
	v_addc_co_u32_e32 v7, vcc, v10, v7, vcc
	s_add_u32 s10, s10, s62
	global_store_byte v[6:7], v2, off
	v_add_u32_e32 v2, s10, v1
	s_addc_u32 s11, s11, 0
	v_cmp_le_i32_e32 vcc, s40, v2
	s_or_b64 s[2:3], vcc, s[2:3]
	v_add_co_u32_e32 v4, vcc, s20, v4
	v_addc_co_u32_e32 v5, vcc, 0, v5, vcc
	s_andn2_b64 exec, exec, s[2:3]
	s_cbranch_execz .LBB19_1255
.LBB19_1235:                            ; =>This Inner Loop Header: Depth=1
	global_load_ushort v2, v[4:5], off
	s_waitcnt vmcnt(0)
	v_lshlrev_b32_e32 v2, 16, v2
	v_div_scale_f32 v6, s[0:1], s33, s33, v2
	v_div_scale_f32 v7, vcc, v2, s33, v2
	v_rcp_f32_e32 v8, v6
	v_fma_f32 v13, -v6, v8, 1.0
	v_fmac_f32_e32 v8, v13, v8
	v_mul_f32_e32 v13, v7, v8
	v_fma_f32 v14, -v6, v13, v7
	v_fmac_f32_e32 v13, v14, v8
	v_fma_f32 v6, -v6, v13, v7
	v_div_fmas_f32 v6, v6, v8, v13
	v_div_fixup_f32 v6, v6, s33, v2
	v_and_b32_e32 v2, 0x7f800000, v6
	v_cmp_ne_u64_e32 vcc, s[4:5], v[2:3]
                                        ; implicit-def: $vgpr2
	s_and_saveexec_b64 s[0:1], vcc
	s_xor_b64 s[12:13], exec, s[0:1]
	s_cbranch_execz .LBB19_1253
; %bb.1236:                             ;   in Loop: Header=BB19_1235 Depth=1
	v_and_b32_e32 v2, 0x7fffffff, v6
	v_cmp_gt_u64_e32 vcc, s[6:7], v[2:3]
	v_and_b32_sdwa v13, v6, s21 dst_sel:DWORD dst_unused:UNUSED_PAD src0_sel:BYTE_3 src1_sel:DWORD
                                        ; implicit-def: $vgpr2
	s_and_saveexec_b64 s[0:1], vcc
	s_xor_b64 s[14:15], exec, s[0:1]
	s_cbranch_execz .LBB19_1250
; %bb.1237:                             ;   in Loop: Header=BB19_1235 Depth=1
	v_cmp_ne_u32_e32 vcc, 0, v6
	v_mov_b32_e32 v2, 0
	s_and_saveexec_b64 s[16:17], vcc
	s_cbranch_execz .LBB19_1249
; %bb.1238:                             ;   in Loop: Header=BB19_1235 Depth=1
	v_bfe_u32 v14, v6, 23, 8
	v_and_b32_e32 v2, 0x7fffff, v6
	v_sub_u32_e32 v6, 0x79, v14
	v_cmp_gt_u32_e32 vcc, s22, v14
	v_cndmask_b32_e32 v6, 0, v6, vcc
	v_cmp_eq_u32_e32 vcc, 0, v14
	v_cndmask_b32_e32 v15, v6, v11, vcc
	v_add_u32_e32 v6, 20, v15
	v_or_b32_e32 v8, 0x800000, v2
	v_lshlrev_b64 v[6:7], v6, -1
	v_cndmask_b32_e32 v2, v8, v2, vcc
	v_bfi_b32 v16, v6, 0, v2
	v_add_u32_e32 v6, 19, v15
	v_bfi_b32 v17, v7, 0, 0
	v_lshlrev_b64 v[18:19], v6, 1
	v_lshrrev_b64 v[6:7], v15, v[2:3]
	v_cmp_eq_u64_e64 s[0:1], v[16:17], v[18:19]
	v_mov_b32_e32 v8, v7
	v_mov_b32_e32 v7, v6
	s_and_saveexec_b64 s[18:19], s[0:1]
; %bb.1239:                             ;   in Loop: Header=BB19_1235 Depth=1
	v_bfe_u32 v2, v6, 20, 1
	v_add_co_u32_e64 v2, s[0:1], v6, v2
	v_add_co_u32_e64 v7, s[0:1], -1, v2
; %bb.1240:                             ;   in Loop: Header=BB19_1235 Depth=1
	s_or_b64 exec, exec, s[18:19]
	v_add_u32_e32 v2, 0xffffff81, v14
	v_cndmask_b32_e32 v2, v2, v12, vcc
	v_lshrrev_b32_e32 v8, 23, v6
	v_add3_u32 v15, v15, v2, v8
	v_add_u32_e32 v14, 6, v15
	v_and_b32_e32 v2, 0xfffff, v7
	v_add_u32_e32 v2, v2, v6
	v_cmp_ne_u32_e32 vcc, 0, v14
                                        ; implicit-def: $vgpr6_vgpr7
                                        ; implicit-def: $vgpr8
	s_and_saveexec_b64 s[0:1], vcc
	s_xor_b64 s[0:1], exec, s[0:1]
; %bb.1241:                             ;   in Loop: Header=BB19_1235 Depth=1
	v_cmp_lt_u64_e32 vcc, s[8:9], v[2:3]
	v_add_u32_e32 v6, 7, v15
	v_cndmask_b32_e32 v8, v14, v6, vcc
	v_cndmask_b32_e64 v6, 0, 1, vcc
	v_lshrrev_b64 v[6:7], v6, v[2:3]
; %bb.1242:                             ;   in Loop: Header=BB19_1235 Depth=1
	s_andn2_saveexec_b64 s[0:1], s[0:1]
; %bb.1243:                             ;   in Loop: Header=BB19_1235 Depth=1
	v_mov_b32_e32 v7, v3
	v_bfe_u32 v8, v2, 23, 1
	v_mov_b32_e32 v6, v2
; %bb.1244:                             ;   in Loop: Header=BB19_1235 Depth=1
	s_or_b64 exec, exec, s[0:1]
	v_lshrrev_b64 v[6:7], 20, v[6:7]
	v_cmp_gt_i32_e32 vcc, 16, v8
	v_cndmask_b32_e32 v7, 0, v7, vcc
	v_cndmask_b32_e32 v6, 7, v6, vcc
	v_cmp_ne_u64_e32 vcc, 0, v[6:7]
	v_cmp_ne_u32_e64 s[0:1], 0, v8
	s_or_b64 s[0:1], s[0:1], vcc
                                        ; implicit-def: $vgpr2
	s_and_saveexec_b64 s[18:19], s[0:1]
	s_xor_b64 s[0:1], exec, s[18:19]
; %bb.1245:                             ;   in Loop: Header=BB19_1235 Depth=1
	v_min_i32_e32 v2, 15, v8
	v_lshl_or_b32 v2, v2, 3, v13
	v_and_or_b32 v2, v6, 7, v2
                                        ; implicit-def: $vgpr13
; %bb.1246:                             ;   in Loop: Header=BB19_1235 Depth=1
	s_andn2_saveexec_b64 s[0:1], s[0:1]
; %bb.1247:                             ;   in Loop: Header=BB19_1235 Depth=1
	v_mov_b32_e32 v2, v13
; %bb.1248:                             ;   in Loop: Header=BB19_1235 Depth=1
	s_or_b64 exec, exec, s[0:1]
.LBB19_1249:                            ;   in Loop: Header=BB19_1235 Depth=1
	s_or_b64 exec, exec, s[16:17]
                                        ; implicit-def: $vgpr13
.LBB19_1250:                            ;   in Loop: Header=BB19_1235 Depth=1
	s_andn2_saveexec_b64 s[0:1], s[14:15]
; %bb.1251:                             ;   in Loop: Header=BB19_1235 Depth=1
	v_or_b32_e32 v2, 0x7e, v13
; %bb.1252:                             ;   in Loop: Header=BB19_1235 Depth=1
	s_or_b64 exec, exec, s[0:1]
                                        ; implicit-def: $vgpr6
.LBB19_1253:                            ;   in Loop: Header=BB19_1235 Depth=1
	s_andn2_saveexec_b64 s[0:1], s[12:13]
	s_cbranch_execz .LBB19_1234
; %bb.1254:                             ;   in Loop: Header=BB19_1235 Depth=1
	v_or_b32_sdwa v2, v6, s23 dst_sel:DWORD dst_unused:UNUSED_PAD src0_sel:BYTE_3 src1_sel:DWORD
	s_branch .LBB19_1234
.LBB19_1255:
	s_or_b64 exec, exec, s[24:25]
	s_mov_b64 s[0:1], 0
.LBB19_1256:
	s_and_b64 vcc, exec, s[0:1]
	s_cbranch_vccz .LBB19_1404
; %bb.1257:
	s_ashr_i32 s18, s48, 3
	v_cmp_gt_i32_e32 vcc, s18, v0
	s_and_saveexec_b64 s[0:1], vcc
	s_cbranch_execz .LBB19_1404
; %bb.1258:
	s_add_u32 s0, s64, s66
	s_addc_u32 s1, s63, s65
	s_add_u32 s0, s30, s0
	v_lshlrev_b32_e32 v1, 3, v0
	s_addc_u32 s1, s31, s1
	s_lshl_b32 s19, s62, 3
	v_mov_b32_e32 v2, s1
	v_add_co_u32_e32 v7, vcc, s0, v1
	s_add_u32 s0, s26, s34
	v_addc_co_u32_e32 v8, vcc, 0, v2, vcc
	v_lshlrev_b32_e32 v1, 4, v0
	s_addc_u32 s1, s27, s35
	v_mov_b32_e32 v2, s1
	v_add_co_u32_e32 v9, vcc, s0, v1
	v_mov_b32_e32 v6, 0
	v_addc_co_u32_e32 v10, vcc, 0, v2, vcc
	s_lshl_b32 s20, s62, 4
	s_mov_b64 s[2:3], 0
	s_mov_b64 s[4:5], 0x7f800000
	s_movk_i32 s21, 0x80
	s_mov_b64 s[6:7], 0x43e00001
	s_movk_i32 s22, 0x7a
	;; [unrolled: 2-line block ×3, first 2 shown]
	s_mov_b32 s24, 0xff00
	s_mov_b32 s25, 0x4020c0c
	v_mov_b32_e32 v19, 0x78
	v_mov_b32_e32 v20, 0xffffff82
	s_branch .LBB19_1260
.LBB19_1259:                            ;   in Loop: Header=BB19_1260 Depth=1
	s_or_b64 exec, exec, s[0:1]
	v_lshlrev_b32_e32 v3, 24, v4
	v_lshlrev_b32_e32 v4, 16, v15
	v_and_b32_e32 v4, 0xff0000, v4
	v_lshlrev_b32_e32 v2, 8, v2
	v_or_b32_e32 v3, v3, v4
	v_and_b32_e32 v2, 0xff00, v2
	v_and_b32_e32 v4, 0xff, v14
	v_or3_b32 v2, v3, v2, v4
	v_lshlrev_b32_e32 v3, 16, v13
	v_lshlrev_b32_e32 v4, 8, v12
	v_perm_b32 v1, v1, v3, s25
	v_and_or_b32 v1, v4, s24, v1
	v_or_b32_sdwa v1, v1, v11 dst_sel:DWORD dst_unused:UNUSED_PAD src0_sel:DWORD src1_sel:BYTE_0
	global_store_dwordx2 v[7:8], v[1:2], off
	v_add_co_u32_e32 v7, vcc, s19, v7
	v_add_u32_e32 v0, s62, v0
	v_addc_co_u32_e32 v8, vcc, 0, v8, vcc
	v_cmp_le_i32_e32 vcc, s18, v0
	s_or_b64 s[2:3], vcc, s[2:3]
	v_add_co_u32_e32 v9, vcc, s20, v9
	v_addc_co_u32_e32 v10, vcc, 0, v10, vcc
	s_andn2_b64 exec, exec, s[2:3]
	s_cbranch_execz .LBB19_1404
.LBB19_1260:                            ; =>This Inner Loop Header: Depth=1
	global_load_dwordx4 v[1:4], v[9:10], off
	s_waitcnt vmcnt(0)
	v_lshlrev_b32_e32 v5, 16, v1
	v_div_scale_f32 v11, s[0:1], s33, s33, v5
	v_div_scale_f32 v12, vcc, v5, s33, v5
	v_rcp_f32_e32 v13, v11
	v_fma_f32 v14, -v11, v13, 1.0
	v_fmac_f32_e32 v13, v14, v13
	v_mul_f32_e32 v14, v12, v13
	v_fma_f32 v15, -v11, v14, v12
	v_fmac_f32_e32 v14, v15, v13
	v_fma_f32 v11, -v11, v14, v12
	v_div_fmas_f32 v11, v11, v13, v14
	v_div_fixup_f32 v14, v11, s33, v5
	v_and_b32_e32 v5, 0x7f800000, v14
	v_cmp_ne_u64_e32 vcc, s[4:5], v[5:6]
                                        ; implicit-def: $vgpr11_vgpr12
	s_and_saveexec_b64 s[0:1], vcc
	s_xor_b64 s[10:11], exec, s[0:1]
	s_cbranch_execz .LBB19_1276
; %bb.1261:                             ;   in Loop: Header=BB19_1260 Depth=1
	v_and_b32_e32 v5, 0x7fffffff, v14
	v_cmp_gt_u64_e32 vcc, s[6:7], v[5:6]
	v_and_b32_sdwa v13, v14, s21 dst_sel:DWORD dst_unused:UNUSED_PAD src0_sel:BYTE_3 src1_sel:DWORD
                                        ; implicit-def: $vgpr11_vgpr12
	s_and_saveexec_b64 s[0:1], vcc
	s_xor_b64 s[12:13], exec, s[0:1]
	s_cbranch_execz .LBB19_1273
; %bb.1262:                             ;   in Loop: Header=BB19_1260 Depth=1
	v_mov_b32_e32 v11, 0
	v_cmp_ne_u32_e32 vcc, 0, v14
	v_mov_b32_e32 v12, 0
	s_and_saveexec_b64 s[14:15], vcc
	s_cbranch_execz .LBB19_1272
; %bb.1263:                             ;   in Loop: Header=BB19_1260 Depth=1
	v_bfe_u32 v16, v14, 23, 8
	v_sub_u32_e32 v11, 0x79, v16
	v_cmp_gt_u32_e32 vcc, s22, v16
	v_cndmask_b32_e32 v11, 0, v11, vcc
	v_cmp_eq_u32_e32 vcc, 0, v16
	v_cndmask_b32_e32 v17, v11, v19, vcc
	v_and_b32_e32 v5, 0x7fffff, v14
	v_add_u32_e32 v11, 20, v17
	v_or_b32_e32 v14, 0x800000, v5
	v_lshlrev_b64 v[11:12], v11, -1
	v_cndmask_b32_e32 v5, v14, v5, vcc
	v_bfi_b32 v14, v11, 0, v5
	v_add_u32_e32 v11, 19, v17
	v_bfi_b32 v15, v12, 0, 0
	v_lshlrev_b64 v[21:22], v11, 1
	v_lshrrev_b64 v[11:12], v17, v[5:6]
	v_cmp_eq_u64_e64 s[0:1], v[14:15], v[21:22]
	v_mov_b32_e32 v15, v12
	v_mov_b32_e32 v14, v11
	s_and_saveexec_b64 s[16:17], s[0:1]
; %bb.1264:                             ;   in Loop: Header=BB19_1260 Depth=1
	v_bfe_u32 v5, v11, 20, 1
	v_add_co_u32_e64 v5, s[0:1], v11, v5
	v_add_co_u32_e64 v14, s[0:1], -1, v5
; %bb.1265:                             ;   in Loop: Header=BB19_1260 Depth=1
	s_or_b64 exec, exec, s[16:17]
	v_add_u32_e32 v5, 0xffffff81, v16
	v_cndmask_b32_e32 v5, v5, v20, vcc
	v_lshrrev_b32_e32 v12, 23, v11
	v_add3_u32 v17, v17, v5, v12
	v_add_u32_e32 v15, 6, v17
	v_and_b32_e32 v5, 0xfffff, v14
	v_add_u32_e32 v5, v5, v11
	v_cmp_ne_u32_e32 vcc, 0, v15
                                        ; implicit-def: $vgpr11_vgpr12
                                        ; implicit-def: $vgpr16
	s_and_saveexec_b64 s[0:1], vcc
	s_xor_b64 s[0:1], exec, s[0:1]
; %bb.1266:                             ;   in Loop: Header=BB19_1260 Depth=1
	v_cmp_lt_u64_e32 vcc, s[8:9], v[5:6]
	v_add_u32_e32 v11, 7, v17
	v_cndmask_b32_e32 v16, v15, v11, vcc
	v_cndmask_b32_e64 v11, 0, 1, vcc
	v_lshrrev_b64 v[11:12], v11, v[5:6]
; %bb.1267:                             ;   in Loop: Header=BB19_1260 Depth=1
	s_andn2_saveexec_b64 s[0:1], s[0:1]
; %bb.1268:                             ;   in Loop: Header=BB19_1260 Depth=1
	v_mov_b32_e32 v12, v6
	v_bfe_u32 v16, v5, 23, 1
	v_mov_b32_e32 v11, v5
; %bb.1269:                             ;   in Loop: Header=BB19_1260 Depth=1
	s_or_b64 exec, exec, s[0:1]
	v_lshrrev_b64 v[11:12], 20, v[11:12]
	v_cmp_gt_i32_e32 vcc, 16, v16
	v_cndmask_b32_e32 v15, 0, v12, vcc
	v_cndmask_b32_e32 v14, 7, v11, vcc
	v_cmp_ne_u64_e32 vcc, 0, v[14:15]
	v_cmp_ne_u32_e64 s[0:1], 0, v16
	s_or_b64 s[0:1], s[0:1], vcc
	v_mov_b32_e32 v11, v13
	v_mov_b32_e32 v12, v14
	s_and_saveexec_b64 s[16:17], s[0:1]
	s_xor_b64 s[0:1], exec, s[16:17]
; %bb.1270:                             ;   in Loop: Header=BB19_1260 Depth=1
	v_min_i32_e32 v5, 15, v16
	v_lshl_or_b32 v5, v5, 3, v13
	v_and_or_b32 v11, v14, 7, v5
; %bb.1271:                             ;   in Loop: Header=BB19_1260 Depth=1
	s_andn2_saveexec_b64 s[0:1], s[0:1]
	s_or_b64 exec, exec, s[0:1]
.LBB19_1272:                            ;   in Loop: Header=BB19_1260 Depth=1
	s_or_b64 exec, exec, s[14:15]
                                        ; implicit-def: $vgpr13
.LBB19_1273:                            ;   in Loop: Header=BB19_1260 Depth=1
	s_andn2_saveexec_b64 s[0:1], s[12:13]
; %bb.1274:                             ;   in Loop: Header=BB19_1260 Depth=1
	v_or_b32_e32 v11, 0x7e, v13
; %bb.1275:                             ;   in Loop: Header=BB19_1260 Depth=1
	s_or_b64 exec, exec, s[0:1]
                                        ; implicit-def: $vgpr14
.LBB19_1276:                            ;   in Loop: Header=BB19_1260 Depth=1
	s_andn2_saveexec_b64 s[0:1], s[10:11]
; %bb.1277:                             ;   in Loop: Header=BB19_1260 Depth=1
	v_or_b32_sdwa v11, v14, s23 dst_sel:DWORD dst_unused:UNUSED_PAD src0_sel:BYTE_3 src1_sel:DWORD
; %bb.1278:                             ;   in Loop: Header=BB19_1260 Depth=1
	s_or_b64 exec, exec, s[0:1]
	v_and_b32_e32 v1, 0xffff0000, v1
	v_div_scale_f32 v5, s[0:1], s33, s33, v1
	v_div_scale_f32 v12, vcc, v1, s33, v1
	v_rcp_f32_e32 v13, v5
	v_fma_f32 v14, -v5, v13, 1.0
	v_fmac_f32_e32 v13, v14, v13
	v_mul_f32_e32 v14, v12, v13
	v_fma_f32 v15, -v5, v14, v12
	v_fmac_f32_e32 v14, v15, v13
	v_fma_f32 v5, -v5, v14, v12
	v_div_fmas_f32 v5, v5, v13, v14
                                        ; implicit-def: $vgpr12_vgpr13
	v_div_fixup_f32 v14, v5, s33, v1
	v_and_b32_e32 v5, 0x7f800000, v14
	v_cmp_ne_u64_e32 vcc, s[4:5], v[5:6]
	s_and_saveexec_b64 s[0:1], vcc
	s_xor_b64 s[10:11], exec, s[0:1]
	s_cbranch_execz .LBB19_1294
; %bb.1279:                             ;   in Loop: Header=BB19_1260 Depth=1
	v_and_b32_e32 v5, 0x7fffffff, v14
	v_cmp_gt_u64_e32 vcc, s[6:7], v[5:6]
	v_and_b32_sdwa v1, v14, s21 dst_sel:DWORD dst_unused:UNUSED_PAD src0_sel:BYTE_3 src1_sel:DWORD
                                        ; implicit-def: $vgpr12_vgpr13
	s_and_saveexec_b64 s[0:1], vcc
	s_xor_b64 s[12:13], exec, s[0:1]
	s_cbranch_execz .LBB19_1291
; %bb.1280:                             ;   in Loop: Header=BB19_1260 Depth=1
	v_mov_b32_e32 v12, 0
	v_cmp_ne_u32_e32 vcc, 0, v14
	v_mov_b32_e32 v13, 0
	s_and_saveexec_b64 s[14:15], vcc
	s_cbranch_execz .LBB19_1290
; %bb.1281:                             ;   in Loop: Header=BB19_1260 Depth=1
	v_bfe_u32 v15, v14, 23, 8
	v_sub_u32_e32 v12, 0x79, v15
	v_cmp_gt_u32_e32 vcc, s22, v15
	v_cndmask_b32_e32 v12, 0, v12, vcc
	v_cmp_eq_u32_e32 vcc, 0, v15
	v_cndmask_b32_e32 v16, v12, v19, vcc
	v_and_b32_e32 v5, 0x7fffff, v14
	v_add_u32_e32 v12, 20, v16
	v_or_b32_e32 v14, 0x800000, v5
	v_lshlrev_b64 v[12:13], v12, -1
	v_cndmask_b32_e32 v5, v14, v5, vcc
	v_bfi_b32 v17, v12, 0, v5
	v_add_u32_e32 v12, 19, v16
	v_bfi_b32 v18, v13, 0, 0
	v_lshlrev_b64 v[21:22], v12, 1
	v_lshrrev_b64 v[12:13], v16, v[5:6]
	v_cmp_eq_u64_e64 s[0:1], v[17:18], v[21:22]
	v_mov_b32_e32 v14, v13
	v_mov_b32_e32 v13, v12
	s_and_saveexec_b64 s[16:17], s[0:1]
; %bb.1282:                             ;   in Loop: Header=BB19_1260 Depth=1
	v_bfe_u32 v5, v12, 20, 1
	v_add_co_u32_e64 v5, s[0:1], v12, v5
	v_add_co_u32_e64 v13, s[0:1], -1, v5
; %bb.1283:                             ;   in Loop: Header=BB19_1260 Depth=1
	s_or_b64 exec, exec, s[16:17]
	v_add_u32_e32 v5, 0xffffff81, v15
	v_cndmask_b32_e32 v5, v5, v20, vcc
	v_lshrrev_b32_e32 v14, 23, v12
	v_add3_u32 v15, v16, v5, v14
	v_add_u32_e32 v14, 6, v15
	v_and_b32_e32 v5, 0xfffff, v13
	v_add_u32_e32 v5, v5, v12
	v_cmp_ne_u32_e32 vcc, 0, v14
                                        ; implicit-def: $vgpr12_vgpr13
                                        ; implicit-def: $vgpr16
	s_and_saveexec_b64 s[0:1], vcc
	s_xor_b64 s[0:1], exec, s[0:1]
; %bb.1284:                             ;   in Loop: Header=BB19_1260 Depth=1
	v_cmp_lt_u64_e32 vcc, s[8:9], v[5:6]
	v_add_u32_e32 v12, 7, v15
	v_cndmask_b32_e32 v16, v14, v12, vcc
	v_cndmask_b32_e64 v12, 0, 1, vcc
	v_lshrrev_b64 v[12:13], v12, v[5:6]
; %bb.1285:                             ;   in Loop: Header=BB19_1260 Depth=1
	s_andn2_saveexec_b64 s[0:1], s[0:1]
; %bb.1286:                             ;   in Loop: Header=BB19_1260 Depth=1
	v_mov_b32_e32 v13, v6
	v_bfe_u32 v16, v5, 23, 1
	v_mov_b32_e32 v12, v5
; %bb.1287:                             ;   in Loop: Header=BB19_1260 Depth=1
	s_or_b64 exec, exec, s[0:1]
	v_lshrrev_b64 v[12:13], 20, v[12:13]
	v_cmp_gt_i32_e32 vcc, 16, v16
	v_cndmask_b32_e32 v15, 0, v13, vcc
	v_cndmask_b32_e32 v14, 7, v12, vcc
	v_cmp_ne_u64_e32 vcc, 0, v[14:15]
	v_cmp_ne_u32_e64 s[0:1], 0, v16
	v_mov_b32_e32 v13, v2
	s_or_b64 s[0:1], s[0:1], vcc
	v_mov_b32_e32 v12, v1
	s_and_saveexec_b64 s[16:17], s[0:1]
	s_xor_b64 s[0:1], exec, s[16:17]
; %bb.1288:                             ;   in Loop: Header=BB19_1260 Depth=1
	v_min_i32_e32 v5, 15, v16
	v_lshl_or_b32 v1, v5, 3, v1
	v_and_or_b32 v12, v14, 7, v1
; %bb.1289:                             ;   in Loop: Header=BB19_1260 Depth=1
	s_andn2_saveexec_b64 s[0:1], s[0:1]
	s_or_b64 exec, exec, s[0:1]
.LBB19_1290:                            ;   in Loop: Header=BB19_1260 Depth=1
	s_or_b64 exec, exec, s[14:15]
                                        ; implicit-def: $vgpr1
.LBB19_1291:                            ;   in Loop: Header=BB19_1260 Depth=1
	s_andn2_saveexec_b64 s[0:1], s[12:13]
; %bb.1292:                             ;   in Loop: Header=BB19_1260 Depth=1
	v_or_b32_e32 v12, 0x7e, v1
; %bb.1293:                             ;   in Loop: Header=BB19_1260 Depth=1
	s_or_b64 exec, exec, s[0:1]
                                        ; implicit-def: $vgpr14
.LBB19_1294:                            ;   in Loop: Header=BB19_1260 Depth=1
	s_andn2_saveexec_b64 s[0:1], s[10:11]
; %bb.1295:                             ;   in Loop: Header=BB19_1260 Depth=1
	v_or_b32_sdwa v12, v14, s23 dst_sel:DWORD dst_unused:UNUSED_PAD src0_sel:BYTE_3 src1_sel:DWORD
; %bb.1296:                             ;   in Loop: Header=BB19_1260 Depth=1
	s_or_b64 exec, exec, s[0:1]
	v_lshlrev_b32_e32 v1, 16, v2
	v_div_scale_f32 v5, s[0:1], s33, s33, v1
	v_div_scale_f32 v13, vcc, v1, s33, v1
	v_rcp_f32_e32 v14, v5
	v_fma_f32 v15, -v5, v14, 1.0
	v_fmac_f32_e32 v14, v15, v14
	v_mul_f32_e32 v15, v13, v14
	v_fma_f32 v16, -v5, v15, v13
	v_fmac_f32_e32 v15, v16, v14
	v_fma_f32 v5, -v5, v15, v13
	v_div_fmas_f32 v5, v5, v14, v15
                                        ; implicit-def: $vgpr13_vgpr14
	v_div_fixup_f32 v15, v5, s33, v1
	v_and_b32_e32 v5, 0x7f800000, v15
	v_cmp_ne_u64_e32 vcc, s[4:5], v[5:6]
	s_and_saveexec_b64 s[0:1], vcc
	s_xor_b64 s[10:11], exec, s[0:1]
	s_cbranch_execz .LBB19_1312
; %bb.1297:                             ;   in Loop: Header=BB19_1260 Depth=1
	v_and_b32_e32 v5, 0x7fffffff, v15
	v_cmp_gt_u64_e32 vcc, s[6:7], v[5:6]
	v_and_b32_sdwa v1, v15, s21 dst_sel:DWORD dst_unused:UNUSED_PAD src0_sel:BYTE_3 src1_sel:DWORD
                                        ; implicit-def: $vgpr13_vgpr14
	s_and_saveexec_b64 s[0:1], vcc
	s_xor_b64 s[12:13], exec, s[0:1]
	s_cbranch_execz .LBB19_1309
; %bb.1298:                             ;   in Loop: Header=BB19_1260 Depth=1
	v_mov_b32_e32 v13, 0
	v_cmp_ne_u32_e32 vcc, 0, v15
	v_mov_b32_e32 v14, 0
	s_and_saveexec_b64 s[14:15], vcc
	s_cbranch_execz .LBB19_1308
; %bb.1299:                             ;   in Loop: Header=BB19_1260 Depth=1
	v_bfe_u32 v16, v15, 23, 8
	v_sub_u32_e32 v13, 0x79, v16
	v_cmp_gt_u32_e32 vcc, s22, v16
	v_cndmask_b32_e32 v13, 0, v13, vcc
	v_cmp_eq_u32_e32 vcc, 0, v16
	v_cndmask_b32_e32 v17, v13, v19, vcc
	v_and_b32_e32 v5, 0x7fffff, v15
	v_add_u32_e32 v13, 20, v17
	v_or_b32_e32 v15, 0x800000, v5
	v_lshlrev_b64 v[13:14], v13, -1
	v_cndmask_b32_e32 v5, v15, v5, vcc
	v_bfi_b32 v21, v13, 0, v5
	v_add_u32_e32 v13, 19, v17
	v_bfi_b32 v22, v14, 0, 0
	v_lshlrev_b64 v[23:24], v13, 1
	v_lshrrev_b64 v[13:14], v17, v[5:6]
	v_cmp_eq_u64_e64 s[0:1], v[21:22], v[23:24]
	v_mov_b32_e32 v15, v14
	v_mov_b32_e32 v14, v13
	s_and_saveexec_b64 s[16:17], s[0:1]
; %bb.1300:                             ;   in Loop: Header=BB19_1260 Depth=1
	v_bfe_u32 v5, v13, 20, 1
	v_add_co_u32_e64 v5, s[0:1], v13, v5
	v_add_co_u32_e64 v14, s[0:1], -1, v5
; %bb.1301:                             ;   in Loop: Header=BB19_1260 Depth=1
	s_or_b64 exec, exec, s[16:17]
	v_add_u32_e32 v5, 0xffffff81, v16
	v_cndmask_b32_e32 v5, v5, v20, vcc
	v_lshrrev_b32_e32 v15, 23, v13
	v_add3_u32 v16, v17, v5, v15
	v_add_u32_e32 v15, 6, v16
	v_and_b32_e32 v5, 0xfffff, v14
	v_add_u32_e32 v5, v5, v13
	v_cmp_ne_u32_e32 vcc, 0, v15
                                        ; implicit-def: $vgpr13_vgpr14
                                        ; implicit-def: $vgpr17
	s_and_saveexec_b64 s[0:1], vcc
	s_xor_b64 s[0:1], exec, s[0:1]
; %bb.1302:                             ;   in Loop: Header=BB19_1260 Depth=1
	v_cmp_lt_u64_e32 vcc, s[8:9], v[5:6]
	v_add_u32_e32 v13, 7, v16
	v_cndmask_b32_e32 v17, v15, v13, vcc
	v_cndmask_b32_e64 v13, 0, 1, vcc
	v_lshrrev_b64 v[13:14], v13, v[5:6]
; %bb.1303:                             ;   in Loop: Header=BB19_1260 Depth=1
	s_andn2_saveexec_b64 s[0:1], s[0:1]
; %bb.1304:                             ;   in Loop: Header=BB19_1260 Depth=1
	v_mov_b32_e32 v14, v6
	v_bfe_u32 v17, v5, 23, 1
	v_mov_b32_e32 v13, v5
; %bb.1305:                             ;   in Loop: Header=BB19_1260 Depth=1
	s_or_b64 exec, exec, s[0:1]
	v_lshrrev_b64 v[13:14], 20, v[13:14]
	v_cmp_gt_i32_e32 vcc, 16, v17
	v_cndmask_b32_e32 v16, 0, v14, vcc
	v_cndmask_b32_e32 v15, 7, v13, vcc
	v_cmp_ne_u64_e32 vcc, 0, v[15:16]
	v_cmp_ne_u32_e64 s[0:1], 0, v17
	v_mov_b32_e32 v14, v2
	s_or_b64 s[0:1], s[0:1], vcc
	v_mov_b32_e32 v13, v1
	s_and_saveexec_b64 s[16:17], s[0:1]
	s_xor_b64 s[0:1], exec, s[16:17]
; %bb.1306:                             ;   in Loop: Header=BB19_1260 Depth=1
	v_min_i32_e32 v5, 15, v17
	v_lshl_or_b32 v1, v5, 3, v1
	v_and_or_b32 v13, v15, 7, v1
; %bb.1307:                             ;   in Loop: Header=BB19_1260 Depth=1
	s_andn2_saveexec_b64 s[0:1], s[0:1]
	s_or_b64 exec, exec, s[0:1]
.LBB19_1308:                            ;   in Loop: Header=BB19_1260 Depth=1
	s_or_b64 exec, exec, s[14:15]
                                        ; implicit-def: $vgpr1
.LBB19_1309:                            ;   in Loop: Header=BB19_1260 Depth=1
	s_andn2_saveexec_b64 s[0:1], s[12:13]
; %bb.1310:                             ;   in Loop: Header=BB19_1260 Depth=1
	v_or_b32_e32 v13, 0x7e, v1
; %bb.1311:                             ;   in Loop: Header=BB19_1260 Depth=1
	s_or_b64 exec, exec, s[0:1]
                                        ; implicit-def: $vgpr15
.LBB19_1312:                            ;   in Loop: Header=BB19_1260 Depth=1
	s_andn2_saveexec_b64 s[0:1], s[10:11]
; %bb.1313:                             ;   in Loop: Header=BB19_1260 Depth=1
	v_or_b32_sdwa v13, v15, s23 dst_sel:DWORD dst_unused:UNUSED_PAD src0_sel:BYTE_3 src1_sel:DWORD
; %bb.1314:                             ;   in Loop: Header=BB19_1260 Depth=1
	s_or_b64 exec, exec, s[0:1]
	v_and_b32_e32 v1, 0xffff0000, v2
	v_div_scale_f32 v2, s[0:1], s33, s33, v1
	v_div_scale_f32 v5, vcc, v1, s33, v1
	v_rcp_f32_e32 v14, v2
	v_fma_f32 v15, -v2, v14, 1.0
	v_fmac_f32_e32 v14, v15, v14
	v_mul_f32_e32 v15, v5, v14
	v_fma_f32 v16, -v2, v15, v5
	v_fmac_f32_e32 v15, v16, v14
	v_fma_f32 v2, -v2, v15, v5
	v_div_fmas_f32 v2, v2, v14, v15
	v_div_fixup_f32 v15, v2, s33, v1
	v_and_b32_e32 v5, 0x7f800000, v15
	v_cmp_ne_u64_e32 vcc, s[4:5], v[5:6]
                                        ; implicit-def: $vgpr1_vgpr2
	s_and_saveexec_b64 s[0:1], vcc
	s_xor_b64 s[10:11], exec, s[0:1]
	s_cbranch_execz .LBB19_1330
; %bb.1315:                             ;   in Loop: Header=BB19_1260 Depth=1
	v_and_b32_e32 v5, 0x7fffffff, v15
	v_cmp_gt_u64_e32 vcc, s[6:7], v[5:6]
	v_and_b32_sdwa v14, v15, s21 dst_sel:DWORD dst_unused:UNUSED_PAD src0_sel:BYTE_3 src1_sel:DWORD
                                        ; implicit-def: $vgpr1_vgpr2
	s_and_saveexec_b64 s[0:1], vcc
	s_xor_b64 s[12:13], exec, s[0:1]
	s_cbranch_execz .LBB19_1327
; %bb.1316:                             ;   in Loop: Header=BB19_1260 Depth=1
	v_mov_b32_e32 v1, 0
	v_cmp_ne_u32_e32 vcc, 0, v15
	v_mov_b32_e32 v2, 0
	s_and_saveexec_b64 s[14:15], vcc
	s_cbranch_execz .LBB19_1326
; %bb.1317:                             ;   in Loop: Header=BB19_1260 Depth=1
	v_bfe_u32 v17, v15, 23, 8
	v_sub_u32_e32 v1, 0x79, v17
	v_cmp_gt_u32_e32 vcc, s22, v17
	v_cndmask_b32_e32 v1, 0, v1, vcc
	v_cmp_eq_u32_e32 vcc, 0, v17
	v_cndmask_b32_e32 v18, v1, v19, vcc
	v_and_b32_e32 v5, 0x7fffff, v15
	v_add_u32_e32 v1, 20, v18
	v_or_b32_e32 v15, 0x800000, v5
	v_lshlrev_b64 v[1:2], v1, -1
	v_cndmask_b32_e32 v5, v15, v5, vcc
	v_bfi_b32 v15, v1, 0, v5
	v_add_u32_e32 v1, 19, v18
	v_bfi_b32 v16, v2, 0, 0
	v_lshlrev_b64 v[21:22], v1, 1
	v_lshrrev_b64 v[1:2], v18, v[5:6]
	v_cmp_eq_u64_e64 s[0:1], v[15:16], v[21:22]
	v_mov_b32_e32 v16, v2
	v_mov_b32_e32 v15, v1
	s_and_saveexec_b64 s[16:17], s[0:1]
; %bb.1318:                             ;   in Loop: Header=BB19_1260 Depth=1
	v_bfe_u32 v2, v1, 20, 1
	v_add_co_u32_e64 v2, s[0:1], v1, v2
	v_add_co_u32_e64 v15, s[0:1], -1, v2
; %bb.1319:                             ;   in Loop: Header=BB19_1260 Depth=1
	s_or_b64 exec, exec, s[16:17]
	v_add_u32_e32 v2, 0xffffff81, v17
	v_cndmask_b32_e32 v2, v2, v20, vcc
	v_lshrrev_b32_e32 v5, 23, v1
	v_add3_u32 v18, v18, v2, v5
	v_add_u32_e32 v16, 6, v18
	v_and_b32_e32 v2, 0xfffff, v15
	v_add_u32_e32 v5, v2, v1
	v_cmp_ne_u32_e32 vcc, 0, v16
                                        ; implicit-def: $vgpr1_vgpr2
                                        ; implicit-def: $vgpr17
	s_and_saveexec_b64 s[0:1], vcc
	s_xor_b64 s[0:1], exec, s[0:1]
; %bb.1320:                             ;   in Loop: Header=BB19_1260 Depth=1
	v_cmp_lt_u64_e32 vcc, s[8:9], v[5:6]
	v_add_u32_e32 v1, 7, v18
	v_cndmask_b32_e32 v17, v16, v1, vcc
	v_cndmask_b32_e64 v1, 0, 1, vcc
	v_lshrrev_b64 v[1:2], v1, v[5:6]
; %bb.1321:                             ;   in Loop: Header=BB19_1260 Depth=1
	s_andn2_saveexec_b64 s[0:1], s[0:1]
; %bb.1322:                             ;   in Loop: Header=BB19_1260 Depth=1
	v_mov_b32_e32 v1, v5
	v_bfe_u32 v17, v5, 23, 1
	v_mov_b32_e32 v2, v6
; %bb.1323:                             ;   in Loop: Header=BB19_1260 Depth=1
	s_or_b64 exec, exec, s[0:1]
	v_lshrrev_b64 v[1:2], 20, v[1:2]
	v_cmp_gt_i32_e32 vcc, 16, v17
	v_cndmask_b32_e32 v16, 0, v2, vcc
	v_cndmask_b32_e32 v15, 7, v1, vcc
	v_cmp_ne_u64_e32 vcc, 0, v[15:16]
	v_cmp_ne_u32_e64 s[0:1], 0, v17
	s_or_b64 s[0:1], s[0:1], vcc
	v_mov_b32_e32 v1, v14
	v_mov_b32_e32 v2, v15
	s_and_saveexec_b64 s[16:17], s[0:1]
	s_xor_b64 s[0:1], exec, s[16:17]
; %bb.1324:                             ;   in Loop: Header=BB19_1260 Depth=1
	v_min_i32_e32 v1, 15, v17
	v_lshl_or_b32 v1, v1, 3, v14
	v_and_or_b32 v1, v15, 7, v1
; %bb.1325:                             ;   in Loop: Header=BB19_1260 Depth=1
	s_andn2_saveexec_b64 s[0:1], s[0:1]
	s_or_b64 exec, exec, s[0:1]
.LBB19_1326:                            ;   in Loop: Header=BB19_1260 Depth=1
	s_or_b64 exec, exec, s[14:15]
                                        ; implicit-def: $vgpr14
.LBB19_1327:                            ;   in Loop: Header=BB19_1260 Depth=1
	s_andn2_saveexec_b64 s[0:1], s[12:13]
; %bb.1328:                             ;   in Loop: Header=BB19_1260 Depth=1
	v_or_b32_e32 v1, 0x7e, v14
; %bb.1329:                             ;   in Loop: Header=BB19_1260 Depth=1
	s_or_b64 exec, exec, s[0:1]
                                        ; implicit-def: $vgpr15
.LBB19_1330:                            ;   in Loop: Header=BB19_1260 Depth=1
	s_andn2_saveexec_b64 s[0:1], s[10:11]
; %bb.1331:                             ;   in Loop: Header=BB19_1260 Depth=1
	v_or_b32_sdwa v1, v15, s23 dst_sel:DWORD dst_unused:UNUSED_PAD src0_sel:BYTE_3 src1_sel:DWORD
; %bb.1332:                             ;   in Loop: Header=BB19_1260 Depth=1
	s_or_b64 exec, exec, s[0:1]
	v_lshlrev_b32_e32 v2, 16, v3
	v_div_scale_f32 v5, s[0:1], s33, s33, v2
	v_div_scale_f32 v14, vcc, v2, s33, v2
	v_rcp_f32_e32 v15, v5
	v_fma_f32 v16, -v5, v15, 1.0
	v_fmac_f32_e32 v15, v16, v15
	v_mul_f32_e32 v16, v14, v15
	v_fma_f32 v17, -v5, v16, v14
	v_fmac_f32_e32 v16, v17, v15
	v_fma_f32 v5, -v5, v16, v14
	v_div_fmas_f32 v5, v5, v15, v16
                                        ; implicit-def: $vgpr14_vgpr15
	v_div_fixup_f32 v16, v5, s33, v2
	v_and_b32_e32 v5, 0x7f800000, v16
	v_cmp_ne_u64_e32 vcc, s[4:5], v[5:6]
	s_and_saveexec_b64 s[0:1], vcc
	s_xor_b64 s[10:11], exec, s[0:1]
	s_cbranch_execz .LBB19_1348
; %bb.1333:                             ;   in Loop: Header=BB19_1260 Depth=1
	v_and_b32_e32 v5, 0x7fffffff, v16
	v_cmp_gt_u64_e32 vcc, s[6:7], v[5:6]
	v_and_b32_sdwa v2, v16, s21 dst_sel:DWORD dst_unused:UNUSED_PAD src0_sel:BYTE_3 src1_sel:DWORD
                                        ; implicit-def: $vgpr14_vgpr15
	s_and_saveexec_b64 s[0:1], vcc
	s_xor_b64 s[12:13], exec, s[0:1]
	s_cbranch_execz .LBB19_1345
; %bb.1334:                             ;   in Loop: Header=BB19_1260 Depth=1
	v_mov_b32_e32 v14, 0
	v_cmp_ne_u32_e32 vcc, 0, v16
	v_mov_b32_e32 v15, 0
	s_and_saveexec_b64 s[14:15], vcc
	s_cbranch_execz .LBB19_1344
; %bb.1335:                             ;   in Loop: Header=BB19_1260 Depth=1
	v_bfe_u32 v17, v16, 23, 8
	v_sub_u32_e32 v14, 0x79, v17
	v_cmp_gt_u32_e32 vcc, s22, v17
	v_cndmask_b32_e32 v14, 0, v14, vcc
	v_cmp_eq_u32_e32 vcc, 0, v17
	v_cndmask_b32_e32 v18, v14, v19, vcc
	v_and_b32_e32 v5, 0x7fffff, v16
	v_add_u32_e32 v14, 20, v18
	v_or_b32_e32 v16, 0x800000, v5
	v_lshlrev_b64 v[14:15], v14, -1
	v_cndmask_b32_e32 v5, v16, v5, vcc
	v_bfi_b32 v21, v14, 0, v5
	v_add_u32_e32 v14, 19, v18
	v_bfi_b32 v22, v15, 0, 0
	v_lshlrev_b64 v[23:24], v14, 1
	v_lshrrev_b64 v[14:15], v18, v[5:6]
	v_cmp_eq_u64_e64 s[0:1], v[21:22], v[23:24]
	v_mov_b32_e32 v16, v15
	v_mov_b32_e32 v15, v14
	s_and_saveexec_b64 s[16:17], s[0:1]
; %bb.1336:                             ;   in Loop: Header=BB19_1260 Depth=1
	v_bfe_u32 v5, v14, 20, 1
	v_add_co_u32_e64 v5, s[0:1], v14, v5
	v_add_co_u32_e64 v15, s[0:1], -1, v5
; %bb.1337:                             ;   in Loop: Header=BB19_1260 Depth=1
	s_or_b64 exec, exec, s[16:17]
	v_add_u32_e32 v5, 0xffffff81, v17
	v_cndmask_b32_e32 v5, v5, v20, vcc
	v_lshrrev_b32_e32 v16, 23, v14
	v_add3_u32 v17, v18, v5, v16
	v_add_u32_e32 v16, 6, v17
	v_and_b32_e32 v5, 0xfffff, v15
	v_add_u32_e32 v5, v5, v14
	v_cmp_ne_u32_e32 vcc, 0, v16
                                        ; implicit-def: $vgpr14_vgpr15
                                        ; implicit-def: $vgpr18
	s_and_saveexec_b64 s[0:1], vcc
	s_xor_b64 s[0:1], exec, s[0:1]
; %bb.1338:                             ;   in Loop: Header=BB19_1260 Depth=1
	v_cmp_lt_u64_e32 vcc, s[8:9], v[5:6]
	v_add_u32_e32 v14, 7, v17
	v_cndmask_b32_e32 v18, v16, v14, vcc
	v_cndmask_b32_e64 v14, 0, 1, vcc
	v_lshrrev_b64 v[14:15], v14, v[5:6]
; %bb.1339:                             ;   in Loop: Header=BB19_1260 Depth=1
	s_andn2_saveexec_b64 s[0:1], s[0:1]
; %bb.1340:                             ;   in Loop: Header=BB19_1260 Depth=1
	v_mov_b32_e32 v15, v6
	v_bfe_u32 v18, v5, 23, 1
	v_mov_b32_e32 v14, v5
; %bb.1341:                             ;   in Loop: Header=BB19_1260 Depth=1
	s_or_b64 exec, exec, s[0:1]
	v_lshrrev_b64 v[14:15], 20, v[14:15]
	v_cmp_gt_i32_e32 vcc, 16, v18
	v_cndmask_b32_e32 v17, 0, v15, vcc
	v_cndmask_b32_e32 v16, 7, v14, vcc
	v_cmp_ne_u64_e32 vcc, 0, v[16:17]
	v_cmp_ne_u32_e64 s[0:1], 0, v18
	v_mov_b32_e32 v15, v3
	s_or_b64 s[0:1], s[0:1], vcc
	v_mov_b32_e32 v14, v2
	s_and_saveexec_b64 s[16:17], s[0:1]
	s_xor_b64 s[0:1], exec, s[16:17]
; %bb.1342:                             ;   in Loop: Header=BB19_1260 Depth=1
	v_min_i32_e32 v5, 15, v18
	v_lshl_or_b32 v2, v5, 3, v2
	v_and_or_b32 v14, v16, 7, v2
; %bb.1343:                             ;   in Loop: Header=BB19_1260 Depth=1
	s_andn2_saveexec_b64 s[0:1], s[0:1]
	s_or_b64 exec, exec, s[0:1]
.LBB19_1344:                            ;   in Loop: Header=BB19_1260 Depth=1
	s_or_b64 exec, exec, s[14:15]
                                        ; implicit-def: $vgpr2
.LBB19_1345:                            ;   in Loop: Header=BB19_1260 Depth=1
	s_andn2_saveexec_b64 s[0:1], s[12:13]
; %bb.1346:                             ;   in Loop: Header=BB19_1260 Depth=1
	v_or_b32_e32 v14, 0x7e, v2
; %bb.1347:                             ;   in Loop: Header=BB19_1260 Depth=1
	s_or_b64 exec, exec, s[0:1]
                                        ; implicit-def: $vgpr16
.LBB19_1348:                            ;   in Loop: Header=BB19_1260 Depth=1
	s_andn2_saveexec_b64 s[0:1], s[10:11]
; %bb.1349:                             ;   in Loop: Header=BB19_1260 Depth=1
	v_or_b32_sdwa v14, v16, s23 dst_sel:DWORD dst_unused:UNUSED_PAD src0_sel:BYTE_3 src1_sel:DWORD
; %bb.1350:                             ;   in Loop: Header=BB19_1260 Depth=1
	s_or_b64 exec, exec, s[0:1]
	v_and_b32_e32 v2, 0xffff0000, v3
	v_div_scale_f32 v3, s[0:1], s33, s33, v2
	v_div_scale_f32 v5, vcc, v2, s33, v2
	v_rcp_f32_e32 v15, v3
	v_fma_f32 v16, -v3, v15, 1.0
	v_fmac_f32_e32 v15, v16, v15
	v_mul_f32_e32 v16, v5, v15
	v_fma_f32 v17, -v3, v16, v5
	v_fmac_f32_e32 v16, v17, v15
	v_fma_f32 v3, -v3, v16, v5
	v_div_fmas_f32 v3, v3, v15, v16
	v_div_fixup_f32 v16, v3, s33, v2
	v_and_b32_e32 v5, 0x7f800000, v16
	v_cmp_ne_u64_e32 vcc, s[4:5], v[5:6]
                                        ; implicit-def: $vgpr2_vgpr3
	s_and_saveexec_b64 s[0:1], vcc
	s_xor_b64 s[10:11], exec, s[0:1]
	s_cbranch_execz .LBB19_1366
; %bb.1351:                             ;   in Loop: Header=BB19_1260 Depth=1
	v_and_b32_e32 v5, 0x7fffffff, v16
	v_cmp_gt_u64_e32 vcc, s[6:7], v[5:6]
	v_and_b32_sdwa v15, v16, s21 dst_sel:DWORD dst_unused:UNUSED_PAD src0_sel:BYTE_3 src1_sel:DWORD
                                        ; implicit-def: $vgpr2_vgpr3
	s_and_saveexec_b64 s[0:1], vcc
	s_xor_b64 s[12:13], exec, s[0:1]
	s_cbranch_execz .LBB19_1363
; %bb.1352:                             ;   in Loop: Header=BB19_1260 Depth=1
	v_mov_b32_e32 v2, 0
	v_cmp_ne_u32_e32 vcc, 0, v16
	v_mov_b32_e32 v3, 0
	s_and_saveexec_b64 s[14:15], vcc
	s_cbranch_execz .LBB19_1362
; %bb.1353:                             ;   in Loop: Header=BB19_1260 Depth=1
	v_bfe_u32 v18, v16, 23, 8
	v_sub_u32_e32 v2, 0x79, v18
	v_cmp_gt_u32_e32 vcc, s22, v18
	v_cndmask_b32_e32 v2, 0, v2, vcc
	v_cmp_eq_u32_e32 vcc, 0, v18
	v_cndmask_b32_e32 v21, v2, v19, vcc
	v_and_b32_e32 v5, 0x7fffff, v16
	v_add_u32_e32 v2, 20, v21
	v_or_b32_e32 v16, 0x800000, v5
	v_lshlrev_b64 v[2:3], v2, -1
	v_cndmask_b32_e32 v5, v16, v5, vcc
	v_bfi_b32 v16, v2, 0, v5
	v_add_u32_e32 v2, 19, v21
	v_bfi_b32 v17, v3, 0, 0
	v_lshlrev_b64 v[22:23], v2, 1
	v_lshrrev_b64 v[2:3], v21, v[5:6]
	v_cmp_eq_u64_e64 s[0:1], v[16:17], v[22:23]
	v_mov_b32_e32 v17, v3
	v_mov_b32_e32 v16, v2
	s_and_saveexec_b64 s[16:17], s[0:1]
; %bb.1354:                             ;   in Loop: Header=BB19_1260 Depth=1
	v_bfe_u32 v3, v2, 20, 1
	v_add_co_u32_e64 v3, s[0:1], v2, v3
	v_add_co_u32_e64 v16, s[0:1], -1, v3
; %bb.1355:                             ;   in Loop: Header=BB19_1260 Depth=1
	s_or_b64 exec, exec, s[16:17]
	v_add_u32_e32 v3, 0xffffff81, v18
	v_cndmask_b32_e32 v3, v3, v20, vcc
	v_lshrrev_b32_e32 v5, 23, v2
	v_add3_u32 v21, v21, v3, v5
	v_add_u32_e32 v17, 6, v21
	v_and_b32_e32 v3, 0xfffff, v16
	v_add_u32_e32 v5, v3, v2
	v_cmp_ne_u32_e32 vcc, 0, v17
                                        ; implicit-def: $vgpr2_vgpr3
                                        ; implicit-def: $vgpr18
	s_and_saveexec_b64 s[0:1], vcc
	s_xor_b64 s[0:1], exec, s[0:1]
; %bb.1356:                             ;   in Loop: Header=BB19_1260 Depth=1
	v_cmp_lt_u64_e32 vcc, s[8:9], v[5:6]
	v_add_u32_e32 v2, 7, v21
	v_cndmask_b32_e32 v18, v17, v2, vcc
	v_cndmask_b32_e64 v2, 0, 1, vcc
	v_lshrrev_b64 v[2:3], v2, v[5:6]
; %bb.1357:                             ;   in Loop: Header=BB19_1260 Depth=1
	s_andn2_saveexec_b64 s[0:1], s[0:1]
; %bb.1358:                             ;   in Loop: Header=BB19_1260 Depth=1
	v_mov_b32_e32 v2, v5
	v_bfe_u32 v18, v5, 23, 1
	v_mov_b32_e32 v3, v6
; %bb.1359:                             ;   in Loop: Header=BB19_1260 Depth=1
	s_or_b64 exec, exec, s[0:1]
	v_lshrrev_b64 v[2:3], 20, v[2:3]
	v_cmp_gt_i32_e32 vcc, 16, v18
	v_cndmask_b32_e32 v17, 0, v3, vcc
	v_cndmask_b32_e32 v16, 7, v2, vcc
	v_cmp_ne_u64_e32 vcc, 0, v[16:17]
	v_cmp_ne_u32_e64 s[0:1], 0, v18
	s_or_b64 s[0:1], s[0:1], vcc
	v_mov_b32_e32 v2, v15
	v_mov_b32_e32 v3, v16
	s_and_saveexec_b64 s[16:17], s[0:1]
	s_xor_b64 s[0:1], exec, s[16:17]
; %bb.1360:                             ;   in Loop: Header=BB19_1260 Depth=1
	v_min_i32_e32 v2, 15, v18
	v_lshl_or_b32 v2, v2, 3, v15
	v_and_or_b32 v2, v16, 7, v2
; %bb.1361:                             ;   in Loop: Header=BB19_1260 Depth=1
	s_andn2_saveexec_b64 s[0:1], s[0:1]
	s_or_b64 exec, exec, s[0:1]
.LBB19_1362:                            ;   in Loop: Header=BB19_1260 Depth=1
	s_or_b64 exec, exec, s[14:15]
                                        ; implicit-def: $vgpr15
.LBB19_1363:                            ;   in Loop: Header=BB19_1260 Depth=1
	s_andn2_saveexec_b64 s[0:1], s[12:13]
; %bb.1364:                             ;   in Loop: Header=BB19_1260 Depth=1
	v_or_b32_e32 v2, 0x7e, v15
; %bb.1365:                             ;   in Loop: Header=BB19_1260 Depth=1
	s_or_b64 exec, exec, s[0:1]
                                        ; implicit-def: $vgpr16
.LBB19_1366:                            ;   in Loop: Header=BB19_1260 Depth=1
	s_andn2_saveexec_b64 s[0:1], s[10:11]
; %bb.1367:                             ;   in Loop: Header=BB19_1260 Depth=1
	v_or_b32_sdwa v2, v16, s23 dst_sel:DWORD dst_unused:UNUSED_PAD src0_sel:BYTE_3 src1_sel:DWORD
; %bb.1368:                             ;   in Loop: Header=BB19_1260 Depth=1
	s_or_b64 exec, exec, s[0:1]
	v_lshlrev_b32_e32 v3, 16, v4
	v_div_scale_f32 v5, s[0:1], s33, s33, v3
	v_div_scale_f32 v15, vcc, v3, s33, v3
	v_rcp_f32_e32 v16, v5
	v_fma_f32 v17, -v5, v16, 1.0
	v_fmac_f32_e32 v16, v17, v16
	v_mul_f32_e32 v17, v15, v16
	v_fma_f32 v18, -v5, v17, v15
	v_fmac_f32_e32 v17, v18, v16
	v_fma_f32 v5, -v5, v17, v15
	v_div_fmas_f32 v5, v5, v16, v17
                                        ; implicit-def: $vgpr15_vgpr16
	v_div_fixup_f32 v17, v5, s33, v3
	v_and_b32_e32 v5, 0x7f800000, v17
	v_cmp_ne_u64_e32 vcc, s[4:5], v[5:6]
	s_and_saveexec_b64 s[0:1], vcc
	s_xor_b64 s[10:11], exec, s[0:1]
	s_cbranch_execz .LBB19_1384
; %bb.1369:                             ;   in Loop: Header=BB19_1260 Depth=1
	v_and_b32_e32 v5, 0x7fffffff, v17
	v_cmp_gt_u64_e32 vcc, s[6:7], v[5:6]
	v_and_b32_sdwa v3, v17, s21 dst_sel:DWORD dst_unused:UNUSED_PAD src0_sel:BYTE_3 src1_sel:DWORD
                                        ; implicit-def: $vgpr15_vgpr16
	s_and_saveexec_b64 s[0:1], vcc
	s_xor_b64 s[12:13], exec, s[0:1]
	s_cbranch_execz .LBB19_1381
; %bb.1370:                             ;   in Loop: Header=BB19_1260 Depth=1
	v_mov_b32_e32 v15, 0
	v_cmp_ne_u32_e32 vcc, 0, v17
	v_mov_b32_e32 v16, 0
	s_and_saveexec_b64 s[14:15], vcc
	s_cbranch_execz .LBB19_1380
; %bb.1371:                             ;   in Loop: Header=BB19_1260 Depth=1
	v_bfe_u32 v18, v17, 23, 8
	v_sub_u32_e32 v15, 0x79, v18
	v_cmp_gt_u32_e32 vcc, s22, v18
	v_cndmask_b32_e32 v15, 0, v15, vcc
	v_cmp_eq_u32_e32 vcc, 0, v18
	v_cndmask_b32_e32 v21, v15, v19, vcc
	v_and_b32_e32 v5, 0x7fffff, v17
	v_add_u32_e32 v15, 20, v21
	v_or_b32_e32 v17, 0x800000, v5
	v_lshlrev_b64 v[15:16], v15, -1
	v_cndmask_b32_e32 v5, v17, v5, vcc
	v_bfi_b32 v22, v15, 0, v5
	v_add_u32_e32 v15, 19, v21
	v_bfi_b32 v23, v16, 0, 0
	v_lshlrev_b64 v[24:25], v15, 1
	v_lshrrev_b64 v[15:16], v21, v[5:6]
	v_cmp_eq_u64_e64 s[0:1], v[22:23], v[24:25]
	v_mov_b32_e32 v17, v16
	v_mov_b32_e32 v16, v15
	s_and_saveexec_b64 s[16:17], s[0:1]
; %bb.1372:                             ;   in Loop: Header=BB19_1260 Depth=1
	v_bfe_u32 v5, v15, 20, 1
	v_add_co_u32_e64 v5, s[0:1], v15, v5
	v_add_co_u32_e64 v16, s[0:1], -1, v5
; %bb.1373:                             ;   in Loop: Header=BB19_1260 Depth=1
	s_or_b64 exec, exec, s[16:17]
	v_add_u32_e32 v5, 0xffffff81, v18
	v_cndmask_b32_e32 v5, v5, v20, vcc
	v_lshrrev_b32_e32 v17, 23, v15
	v_add3_u32 v18, v21, v5, v17
	v_add_u32_e32 v17, 6, v18
	v_and_b32_e32 v5, 0xfffff, v16
	v_add_u32_e32 v5, v5, v15
	v_cmp_ne_u32_e32 vcc, 0, v17
                                        ; implicit-def: $vgpr15_vgpr16
                                        ; implicit-def: $vgpr21
	s_and_saveexec_b64 s[0:1], vcc
	s_xor_b64 s[0:1], exec, s[0:1]
; %bb.1374:                             ;   in Loop: Header=BB19_1260 Depth=1
	v_cmp_lt_u64_e32 vcc, s[8:9], v[5:6]
	v_add_u32_e32 v15, 7, v18
	v_cndmask_b32_e32 v21, v17, v15, vcc
	v_cndmask_b32_e64 v15, 0, 1, vcc
	v_lshrrev_b64 v[15:16], v15, v[5:6]
; %bb.1375:                             ;   in Loop: Header=BB19_1260 Depth=1
	s_andn2_saveexec_b64 s[0:1], s[0:1]
; %bb.1376:                             ;   in Loop: Header=BB19_1260 Depth=1
	v_mov_b32_e32 v16, v6
	v_bfe_u32 v21, v5, 23, 1
	v_mov_b32_e32 v15, v5
; %bb.1377:                             ;   in Loop: Header=BB19_1260 Depth=1
	s_or_b64 exec, exec, s[0:1]
	v_lshrrev_b64 v[15:16], 20, v[15:16]
	v_cmp_gt_i32_e32 vcc, 16, v21
	v_cndmask_b32_e32 v18, 0, v16, vcc
	v_cndmask_b32_e32 v17, 7, v15, vcc
	v_cmp_ne_u64_e32 vcc, 0, v[17:18]
	v_cmp_ne_u32_e64 s[0:1], 0, v21
	v_mov_b32_e32 v16, v4
	s_or_b64 s[0:1], s[0:1], vcc
	v_mov_b32_e32 v15, v3
	s_and_saveexec_b64 s[16:17], s[0:1]
	s_xor_b64 s[0:1], exec, s[16:17]
; %bb.1378:                             ;   in Loop: Header=BB19_1260 Depth=1
	v_min_i32_e32 v5, 15, v21
	v_lshl_or_b32 v3, v5, 3, v3
	v_and_or_b32 v15, v17, 7, v3
; %bb.1379:                             ;   in Loop: Header=BB19_1260 Depth=1
	s_andn2_saveexec_b64 s[0:1], s[0:1]
	s_or_b64 exec, exec, s[0:1]
.LBB19_1380:                            ;   in Loop: Header=BB19_1260 Depth=1
	s_or_b64 exec, exec, s[14:15]
                                        ; implicit-def: $vgpr3
.LBB19_1381:                            ;   in Loop: Header=BB19_1260 Depth=1
	s_andn2_saveexec_b64 s[0:1], s[12:13]
; %bb.1382:                             ;   in Loop: Header=BB19_1260 Depth=1
	v_or_b32_e32 v15, 0x7e, v3
; %bb.1383:                             ;   in Loop: Header=BB19_1260 Depth=1
	s_or_b64 exec, exec, s[0:1]
                                        ; implicit-def: $vgpr17
.LBB19_1384:                            ;   in Loop: Header=BB19_1260 Depth=1
	s_andn2_saveexec_b64 s[0:1], s[10:11]
; %bb.1385:                             ;   in Loop: Header=BB19_1260 Depth=1
	v_or_b32_sdwa v15, v17, s23 dst_sel:DWORD dst_unused:UNUSED_PAD src0_sel:BYTE_3 src1_sel:DWORD
; %bb.1386:                             ;   in Loop: Header=BB19_1260 Depth=1
	s_or_b64 exec, exec, s[0:1]
	v_and_b32_e32 v3, 0xffff0000, v4
	v_div_scale_f32 v4, s[0:1], s33, s33, v3
	v_div_scale_f32 v5, vcc, v3, s33, v3
	v_rcp_f32_e32 v16, v4
	v_fma_f32 v17, -v4, v16, 1.0
	v_fmac_f32_e32 v16, v17, v16
	v_mul_f32_e32 v17, v5, v16
	v_fma_f32 v18, -v4, v17, v5
	v_fmac_f32_e32 v17, v18, v16
	v_fma_f32 v4, -v4, v17, v5
	v_div_fmas_f32 v4, v4, v16, v17
	v_div_fixup_f32 v16, v4, s33, v3
	v_and_b32_e32 v5, 0x7f800000, v16
	v_cmp_ne_u64_e32 vcc, s[4:5], v[5:6]
                                        ; implicit-def: $vgpr4_vgpr5
	s_and_saveexec_b64 s[0:1], vcc
	s_xor_b64 s[10:11], exec, s[0:1]
	s_cbranch_execz .LBB19_1402
; %bb.1387:                             ;   in Loop: Header=BB19_1260 Depth=1
	v_and_b32_e32 v5, 0x7fffffff, v16
	v_cmp_gt_u64_e32 vcc, s[6:7], v[5:6]
	v_and_b32_sdwa v3, v16, s21 dst_sel:DWORD dst_unused:UNUSED_PAD src0_sel:BYTE_3 src1_sel:DWORD
                                        ; implicit-def: $vgpr4_vgpr5
	s_and_saveexec_b64 s[0:1], vcc
	s_xor_b64 s[12:13], exec, s[0:1]
	s_cbranch_execz .LBB19_1399
; %bb.1388:                             ;   in Loop: Header=BB19_1260 Depth=1
	v_mov_b32_e32 v4, 0
	v_cmp_ne_u32_e32 vcc, 0, v16
	v_mov_b32_e32 v5, 0
	s_and_saveexec_b64 s[14:15], vcc
	s_cbranch_execz .LBB19_1398
; %bb.1389:                             ;   in Loop: Header=BB19_1260 Depth=1
	v_bfe_u32 v18, v16, 23, 8
	v_sub_u32_e32 v5, 0x79, v18
	v_cmp_gt_u32_e32 vcc, s22, v18
	v_cndmask_b32_e32 v5, 0, v5, vcc
	v_cmp_eq_u32_e32 vcc, 0, v18
	v_cndmask_b32_e32 v21, v5, v19, vcc
	v_and_b32_e32 v4, 0x7fffff, v16
	v_add_u32_e32 v5, 20, v21
	v_or_b32_e32 v22, 0x800000, v4
	v_lshlrev_b64 v[16:17], v5, -1
	v_cndmask_b32_e32 v5, v22, v4, vcc
	v_add_u32_e32 v4, 19, v21
	v_bfi_b32 v16, v16, 0, v5
	v_lshlrev_b64 v[22:23], v4, 1
	v_lshrrev_b64 v[4:5], v21, v[5:6]
	v_bfi_b32 v17, v17, 0, 0
	v_cmp_eq_u64_e64 s[0:1], v[16:17], v[22:23]
	v_mov_b32_e32 v17, v5
	v_mov_b32_e32 v16, v4
	s_and_saveexec_b64 s[16:17], s[0:1]
; %bb.1390:                             ;   in Loop: Header=BB19_1260 Depth=1
	v_bfe_u32 v5, v4, 20, 1
	v_add_co_u32_e64 v5, s[0:1], v4, v5
	v_add_co_u32_e64 v16, s[0:1], -1, v5
; %bb.1391:                             ;   in Loop: Header=BB19_1260 Depth=1
	s_or_b64 exec, exec, s[16:17]
	v_add_u32_e32 v5, 0xffffff81, v18
	v_cndmask_b32_e32 v5, v5, v20, vcc
	v_lshrrev_b32_e32 v17, 23, v4
	v_add3_u32 v22, v21, v5, v17
	v_add_u32_e32 v21, 6, v22
	v_and_b32_e32 v5, 0xfffff, v16
	v_add_u32_e32 v5, v5, v4
	v_cmp_ne_u32_e32 vcc, 0, v21
                                        ; implicit-def: $vgpr16_vgpr17
                                        ; implicit-def: $vgpr18
	s_and_saveexec_b64 s[0:1], vcc
	s_xor_b64 s[0:1], exec, s[0:1]
; %bb.1392:                             ;   in Loop: Header=BB19_1260 Depth=1
	v_cmp_lt_u64_e32 vcc, s[8:9], v[5:6]
	v_add_u32_e32 v4, 7, v22
	v_cndmask_b32_e32 v18, v21, v4, vcc
	v_cndmask_b32_e64 v4, 0, 1, vcc
	v_lshrrev_b64 v[16:17], v4, v[5:6]
; %bb.1393:                             ;   in Loop: Header=BB19_1260 Depth=1
	s_andn2_saveexec_b64 s[0:1], s[0:1]
; %bb.1394:                             ;   in Loop: Header=BB19_1260 Depth=1
	v_mov_b32_e32 v17, v6
	v_bfe_u32 v18, v5, 23, 1
	v_mov_b32_e32 v16, v5
; %bb.1395:                             ;   in Loop: Header=BB19_1260 Depth=1
	s_or_b64 exec, exec, s[0:1]
	v_lshrrev_b64 v[4:5], 20, v[16:17]
	v_cmp_gt_i32_e32 vcc, 16, v18
	v_cndmask_b32_e32 v17, 0, v5, vcc
	v_cndmask_b32_e32 v16, 7, v4, vcc
	v_cmp_ne_u64_e32 vcc, 0, v[16:17]
	v_cmp_ne_u32_e64 s[0:1], 0, v18
	v_mov_b32_e32 v5, v4
	s_or_b64 s[0:1], s[0:1], vcc
	v_mov_b32_e32 v4, v3
	s_and_saveexec_b64 s[16:17], s[0:1]
	s_xor_b64 s[0:1], exec, s[16:17]
; %bb.1396:                             ;   in Loop: Header=BB19_1260 Depth=1
	v_min_i32_e32 v4, 15, v18
	v_lshl_or_b32 v3, v4, 3, v3
	v_and_or_b32 v4, v16, 7, v3
; %bb.1397:                             ;   in Loop: Header=BB19_1260 Depth=1
	s_andn2_saveexec_b64 s[0:1], s[0:1]
	s_or_b64 exec, exec, s[0:1]
.LBB19_1398:                            ;   in Loop: Header=BB19_1260 Depth=1
	s_or_b64 exec, exec, s[14:15]
                                        ; implicit-def: $vgpr3
.LBB19_1399:                            ;   in Loop: Header=BB19_1260 Depth=1
	s_andn2_saveexec_b64 s[0:1], s[12:13]
; %bb.1400:                             ;   in Loop: Header=BB19_1260 Depth=1
	v_or_b32_e32 v4, 0x7e, v3
; %bb.1401:                             ;   in Loop: Header=BB19_1260 Depth=1
	s_or_b64 exec, exec, s[0:1]
                                        ; implicit-def: $vgpr16
.LBB19_1402:                            ;   in Loop: Header=BB19_1260 Depth=1
	s_andn2_saveexec_b64 s[0:1], s[10:11]
	s_cbranch_execz .LBB19_1259
; %bb.1403:                             ;   in Loop: Header=BB19_1260 Depth=1
	v_or_b32_sdwa v4, v16, s23 dst_sel:DWORD dst_unused:UNUSED_PAD src0_sel:BYTE_3 src1_sel:DWORD
	s_branch .LBB19_1259
.LBB19_1404:
	s_endpgm
	.section	.rodata,"a",@progbits
	.p2align	6, 0x0
	.amdhsa_kernel _ZN4vllm30reshape_and_cache_flash_kernelI14__hip_bfloat16hLNS_18Fp8KVCacheDataTypeE1EEEvPKT_S5_PT0_S7_PKlllllliiiPKfSB_
		.amdhsa_group_segment_fixed_size 0
		.amdhsa_private_segment_fixed_size 16
		.amdhsa_kernarg_size 368
		.amdhsa_user_sgpr_count 6
		.amdhsa_user_sgpr_private_segment_buffer 1
		.amdhsa_user_sgpr_dispatch_ptr 0
		.amdhsa_user_sgpr_queue_ptr 0
		.amdhsa_user_sgpr_kernarg_segment_ptr 1
		.amdhsa_user_sgpr_dispatch_id 0
		.amdhsa_user_sgpr_flat_scratch_init 0
		.amdhsa_user_sgpr_private_segment_size 0
		.amdhsa_uses_dynamic_stack 0
		.amdhsa_system_sgpr_private_segment_wavefront_offset 1
		.amdhsa_system_sgpr_workgroup_id_x 1
		.amdhsa_system_sgpr_workgroup_id_y 0
		.amdhsa_system_sgpr_workgroup_id_z 0
		.amdhsa_system_sgpr_workgroup_info 0
		.amdhsa_system_vgpr_workitem_id 0
		.amdhsa_next_free_vgpr 64
		.amdhsa_next_free_sgpr 100
		.amdhsa_reserve_vcc 1
		.amdhsa_reserve_flat_scratch 0
		.amdhsa_float_round_mode_32 0
		.amdhsa_float_round_mode_16_64 0
		.amdhsa_float_denorm_mode_32 3
		.amdhsa_float_denorm_mode_16_64 3
		.amdhsa_dx10_clamp 1
		.amdhsa_ieee_mode 1
		.amdhsa_fp16_overflow 0
		.amdhsa_exception_fp_ieee_invalid_op 0
		.amdhsa_exception_fp_denorm_src 0
		.amdhsa_exception_fp_ieee_div_zero 0
		.amdhsa_exception_fp_ieee_overflow 0
		.amdhsa_exception_fp_ieee_underflow 0
		.amdhsa_exception_fp_ieee_inexact 0
		.amdhsa_exception_int_div_zero 0
	.end_amdhsa_kernel
	.section	.text._ZN4vllm30reshape_and_cache_flash_kernelI14__hip_bfloat16hLNS_18Fp8KVCacheDataTypeE1EEEvPKT_S5_PT0_S7_PKlllllliiiPKfSB_,"axG",@progbits,_ZN4vllm30reshape_and_cache_flash_kernelI14__hip_bfloat16hLNS_18Fp8KVCacheDataTypeE1EEEvPKT_S5_PT0_S7_PKlllllliiiPKfSB_,comdat
.Lfunc_end19:
	.size	_ZN4vllm30reshape_and_cache_flash_kernelI14__hip_bfloat16hLNS_18Fp8KVCacheDataTypeE1EEEvPKT_S5_PT0_S7_PKlllllliiiPKfSB_, .Lfunc_end19-_ZN4vllm30reshape_and_cache_flash_kernelI14__hip_bfloat16hLNS_18Fp8KVCacheDataTypeE1EEEvPKT_S5_PT0_S7_PKlllllliiiPKfSB_
                                        ; -- End function
	.set _ZN4vllm30reshape_and_cache_flash_kernelI14__hip_bfloat16hLNS_18Fp8KVCacheDataTypeE1EEEvPKT_S5_PT0_S7_PKlllllliiiPKfSB_.num_vgpr, 64
	.set _ZN4vllm30reshape_and_cache_flash_kernelI14__hip_bfloat16hLNS_18Fp8KVCacheDataTypeE1EEEvPKT_S5_PT0_S7_PKlllllliiiPKfSB_.num_agpr, 0
	.set _ZN4vllm30reshape_and_cache_flash_kernelI14__hip_bfloat16hLNS_18Fp8KVCacheDataTypeE1EEEvPKT_S5_PT0_S7_PKlllllliiiPKfSB_.numbered_sgpr, 100
	.set _ZN4vllm30reshape_and_cache_flash_kernelI14__hip_bfloat16hLNS_18Fp8KVCacheDataTypeE1EEEvPKT_S5_PT0_S7_PKlllllliiiPKfSB_.num_named_barrier, 0
	.set _ZN4vllm30reshape_and_cache_flash_kernelI14__hip_bfloat16hLNS_18Fp8KVCacheDataTypeE1EEEvPKT_S5_PT0_S7_PKlllllliiiPKfSB_.private_seg_size, 16
	.set _ZN4vllm30reshape_and_cache_flash_kernelI14__hip_bfloat16hLNS_18Fp8KVCacheDataTypeE1EEEvPKT_S5_PT0_S7_PKlllllliiiPKfSB_.uses_vcc, 1
	.set _ZN4vllm30reshape_and_cache_flash_kernelI14__hip_bfloat16hLNS_18Fp8KVCacheDataTypeE1EEEvPKT_S5_PT0_S7_PKlllllliiiPKfSB_.uses_flat_scratch, 0
	.set _ZN4vllm30reshape_and_cache_flash_kernelI14__hip_bfloat16hLNS_18Fp8KVCacheDataTypeE1EEEvPKT_S5_PT0_S7_PKlllllliiiPKfSB_.has_dyn_sized_stack, 0
	.set _ZN4vllm30reshape_and_cache_flash_kernelI14__hip_bfloat16hLNS_18Fp8KVCacheDataTypeE1EEEvPKT_S5_PT0_S7_PKlllllliiiPKfSB_.has_recursion, 0
	.set _ZN4vllm30reshape_and_cache_flash_kernelI14__hip_bfloat16hLNS_18Fp8KVCacheDataTypeE1EEEvPKT_S5_PT0_S7_PKlllllliiiPKfSB_.has_indirect_call, 0
	.section	.AMDGPU.csdata,"",@progbits
; Kernel info:
; codeLenInByte = 48180
; TotalNumSgprs: 104
; NumVgprs: 64
; ScratchSize: 16
; MemoryBound: 0
; FloatMode: 240
; IeeeMode: 1
; LDSByteSize: 0 bytes/workgroup (compile time only)
; SGPRBlocks: 12
; VGPRBlocks: 15
; NumSGPRsForWavesPerEU: 104
; NumVGPRsForWavesPerEU: 64
; Occupancy: 4
; WaveLimiterHint : 1
; COMPUTE_PGM_RSRC2:SCRATCH_EN: 1
; COMPUTE_PGM_RSRC2:USER_SGPR: 6
; COMPUTE_PGM_RSRC2:TRAP_HANDLER: 0
; COMPUTE_PGM_RSRC2:TGID_X_EN: 1
; COMPUTE_PGM_RSRC2:TGID_Y_EN: 0
; COMPUTE_PGM_RSRC2:TGID_Z_EN: 0
; COMPUTE_PGM_RSRC2:TIDIG_COMP_CNT: 0
	.section	.text._ZN4vllm27concat_and_cache_mla_kernelIffLNS_18Fp8KVCacheDataTypeE0EEEvPKT_S4_PT0_PKliiiiiiiPKf,"axG",@progbits,_ZN4vllm27concat_and_cache_mla_kernelIffLNS_18Fp8KVCacheDataTypeE0EEEvPKT_S4_PT0_PKliiiiiiiPKf,comdat
	.protected	_ZN4vllm27concat_and_cache_mla_kernelIffLNS_18Fp8KVCacheDataTypeE0EEEvPKT_S4_PT0_PKliiiiiiiPKf ; -- Begin function _ZN4vllm27concat_and_cache_mla_kernelIffLNS_18Fp8KVCacheDataTypeE0EEEvPKT_S4_PT0_PKliiiiiiiPKf
	.globl	_ZN4vllm27concat_and_cache_mla_kernelIffLNS_18Fp8KVCacheDataTypeE0EEEvPKT_S4_PT0_PKliiiiiiiPKf
	.p2align	8
	.type	_ZN4vllm27concat_and_cache_mla_kernelIffLNS_18Fp8KVCacheDataTypeE0EEEvPKT_S4_PT0_PKliiiiiiiPKf,@function
_ZN4vllm27concat_and_cache_mla_kernelIffLNS_18Fp8KVCacheDataTypeE0EEEvPKT_S4_PT0_PKliiiiiiiPKf: ; @_ZN4vllm27concat_and_cache_mla_kernelIffLNS_18Fp8KVCacheDataTypeE0EEEvPKT_S4_PT0_PKliiiiiiiPKf
; %bb.0:
	s_load_dwordx2 s[0:1], s[4:5], 0x18
	s_mov_b32 s7, 0
	s_lshl_b64 s[2:3], s[6:7], 3
	s_waitcnt lgkmcnt(0)
	s_add_u32 s0, s0, s2
	s_addc_u32 s1, s1, s3
	s_load_dwordx2 s[0:1], s[0:1], 0x0
	s_waitcnt lgkmcnt(0)
	v_cmp_lt_i64_e64 s[2:3], s[0:1], 0
	s_and_b64 vcc, exec, s[2:3]
	s_cbranch_vccnz .LBB20_10
; %bb.1:
	s_load_dwordx8 s[8:15], s[4:5], 0x20
	s_waitcnt lgkmcnt(0)
	s_ashr_i32 s15, s14, 31
	s_or_b64 s[2:3], s[0:1], s[14:15]
	s_mov_b32 s2, s7
	s_cmp_lg_u64 s[2:3], 0
	s_cbranch_scc0 .LBB20_11
; %bb.2:
	s_ashr_i32 s2, s15, 31
	s_add_u32 s16, s14, s2
	s_mov_b32 s3, s2
	s_addc_u32 s17, s15, s2
	s_xor_b64 s[16:17], s[16:17], s[2:3]
	v_cvt_f32_u32_e32 v1, s16
	v_cvt_f32_u32_e32 v2, s17
	s_sub_u32 s7, 0, s16
	s_subb_u32 s22, 0, s17
	v_madmk_f32 v1, v2, 0x4f800000, v1
	v_rcp_f32_e32 v1, v1
	v_mul_f32_e32 v1, 0x5f7ffffc, v1
	v_mul_f32_e32 v2, 0x2f800000, v1
	v_trunc_f32_e32 v2, v2
	v_madmk_f32 v1, v2, 0xcf800000, v1
	v_cvt_u32_f32_e32 v2, v2
	v_cvt_u32_f32_e32 v1, v1
	v_readfirstlane_b32 s23, v2
	v_readfirstlane_b32 s20, v1
	s_mul_i32 s21, s7, s23
	s_mul_hi_u32 s25, s7, s20
	s_mul_i32 s24, s22, s20
	s_add_i32 s21, s25, s21
	s_add_i32 s21, s21, s24
	s_mul_i32 s26, s7, s20
	s_mul_i32 s25, s20, s21
	s_mul_hi_u32 s27, s20, s26
	s_mul_hi_u32 s24, s20, s21
	s_add_u32 s25, s27, s25
	s_addc_u32 s24, 0, s24
	s_mul_hi_u32 s28, s23, s26
	s_mul_i32 s26, s23, s26
	s_add_u32 s25, s25, s26
	s_mul_hi_u32 s27, s23, s21
	s_addc_u32 s24, s24, s28
	s_addc_u32 s25, s27, 0
	s_mul_i32 s21, s23, s21
	s_add_u32 s21, s24, s21
	s_addc_u32 s24, 0, s25
	s_add_u32 s25, s20, s21
	s_cselect_b64 s[20:21], -1, 0
	s_cmp_lg_u64 s[20:21], 0
	s_addc_u32 s23, s23, s24
	s_mul_i32 s20, s7, s23
	s_mul_hi_u32 s21, s7, s25
	s_add_i32 s20, s21, s20
	s_mul_i32 s22, s22, s25
	s_add_i32 s20, s20, s22
	s_mul_i32 s7, s7, s25
	s_mul_hi_u32 s22, s23, s7
	s_mul_i32 s24, s23, s7
	s_mul_i32 s27, s25, s20
	s_mul_hi_u32 s7, s25, s7
	s_mul_hi_u32 s26, s25, s20
	s_add_u32 s7, s7, s27
	s_addc_u32 s26, 0, s26
	s_add_u32 s7, s7, s24
	s_mul_hi_u32 s21, s23, s20
	s_addc_u32 s7, s26, s22
	s_addc_u32 s21, s21, 0
	s_mul_i32 s20, s23, s20
	s_add_u32 s7, s7, s20
	s_addc_u32 s22, 0, s21
	s_add_u32 s7, s25, s7
	s_cselect_b64 s[20:21], -1, 0
	s_cmp_lg_u64 s[20:21], 0
	s_addc_u32 s24, s23, s22
	s_ashr_i32 s20, s1, 31
	s_add_u32 s22, s0, s20
	s_mov_b32 s21, s20
	s_addc_u32 s23, s1, s20
	s_xor_b64 s[22:23], s[22:23], s[20:21]
	s_mul_i32 s26, s22, s24
	s_mul_hi_u32 s27, s22, s7
	s_mul_hi_u32 s25, s22, s24
	s_add_u32 s26, s27, s26
	s_addc_u32 s25, 0, s25
	s_mul_hi_u32 s28, s23, s7
	s_mul_i32 s7, s23, s7
	s_add_u32 s7, s26, s7
	s_mul_hi_u32 s27, s23, s24
	s_addc_u32 s7, s25, s28
	s_addc_u32 s25, s27, 0
	s_mul_i32 s24, s23, s24
	s_add_u32 s7, s7, s24
	s_addc_u32 s28, 0, s25
	s_mul_i32 s24, s16, s28
	s_mul_hi_u32 s25, s16, s7
	s_add_i32 s24, s25, s24
	s_mul_i32 s25, s17, s7
	s_add_i32 s29, s24, s25
	s_sub_i32 s26, s23, s29
	s_mul_i32 s24, s16, s7
	s_sub_u32 s22, s22, s24
	s_cselect_b64 s[24:25], -1, 0
	s_cmp_lg_u64 s[24:25], 0
	s_subb_u32 s30, s26, s17
	s_sub_u32 s31, s22, s16
	s_cselect_b64 s[26:27], -1, 0
	s_cmp_lg_u64 s[26:27], 0
	s_subb_u32 s26, s30, 0
	s_cmp_ge_u32 s26, s17
	s_cselect_b32 s27, -1, 0
	s_cmp_ge_u32 s31, s16
	s_cselect_b32 s30, -1, 0
	s_cmp_eq_u32 s26, s17
	s_cselect_b32 s26, s30, s27
	s_add_u32 s27, s7, 1
	s_addc_u32 s30, s28, 0
	s_add_u32 s31, s7, 2
	s_addc_u32 s33, s28, 0
	s_cmp_lg_u32 s26, 0
	s_cselect_b32 s26, s31, s27
	s_cselect_b32 s27, s33, s30
	s_cmp_lg_u64 s[24:25], 0
	s_subb_u32 s23, s23, s29
	s_cmp_ge_u32 s23, s17
	s_cselect_b32 s24, -1, 0
	s_cmp_ge_u32 s22, s16
	s_cselect_b32 s16, -1, 0
	s_cmp_eq_u32 s23, s17
	s_cselect_b32 s16, s16, s24
	s_cmp_lg_u32 s16, 0
	s_cselect_b32 s17, s27, s28
	s_cselect_b32 s16, s26, s7
	s_xor_b64 s[2:3], s[20:21], s[2:3]
	s_xor_b64 s[16:17], s[16:17], s[2:3]
	s_sub_u32 s16, s16, s2
	s_subb_u32 s17, s17, s3
	s_load_dwordx2 s[2:3], s[4:5], 0x10
	s_cbranch_execnz .LBB20_4
.LBB20_3:
	v_cvt_f32_u32_e32 v1, s14
	s_sub_i32 s7, 0, s14
	s_mov_b32 s17, 0
	v_rcp_iflag_f32_e32 v1, v1
	v_mul_f32_e32 v1, 0x4f7ffffe, v1
	v_cvt_u32_f32_e32 v1, v1
	v_readfirstlane_b32 s16, v1
	s_mul_i32 s7, s7, s16
	s_mul_hi_u32 s7, s16, s7
	s_add_i32 s16, s16, s7
	s_mul_hi_u32 s7, s0, s16
	s_mul_i32 s18, s7, s14
	s_sub_i32 s18, s0, s18
	s_add_i32 s16, s7, 1
	s_sub_i32 s19, s18, s14
	s_cmp_ge_u32 s18, s14
	s_cselect_b32 s7, s16, s7
	s_cselect_b32 s18, s19, s18
	s_add_i32 s16, s7, 1
	s_cmp_ge_u32 s18, s14
	s_cselect_b32 s16, s16, s7
.LBB20_4:
	s_mul_i32 s7, s16, s15
	s_mul_hi_u32 s15, s16, s14
	s_load_dwordx2 s[18:19], s[4:5], 0x8
	s_add_i32 s7, s15, s7
	s_mul_i32 s15, s17, s14
	s_add_i32 s15, s7, s15
	s_mul_i32 s7, s16, s14
	s_sub_u32 s7, s0, s7
	s_subb_u32 s24, s1, s15
	v_cmp_gt_i32_e32 vcc, s12, v0
	s_mul_hi_u32 s25, s16, s8
	s_mul_i32 s26, s17, s8
	s_mul_i32 s0, s16, s8
	s_mul_hi_u32 s17, s7, s9
	s_mul_i32 s24, s24, s9
	s_mul_i32 s14, s7, s9
	s_and_saveexec_b64 s[20:21], vcc
	s_cbranch_execz .LBB20_7
; %bb.5:
	s_ashr_i32 s1, s10, 31
	s_load_dwordx2 s[22:23], s[4:5], 0x0
	s_load_dword s27, s[4:5], 0x54
	s_mul_hi_u32 s15, s10, s6
	s_mul_i32 s1, s1, s6
	s_add_i32 s29, s15, s1
	s_mul_i32 s28, s10, s6
	s_ashr_i32 s1, s8, 31
	s_ashr_i32 s10, s9, 31
	s_mul_i32 s1, s16, s1
	s_mul_i32 s10, s7, s10
	s_add_i32 s1, s25, s1
	s_add_i32 s10, s17, s10
	;; [unrolled: 1-line block ×4, first 2 shown]
	s_lshl_b64 s[28:29], s[28:29], 2
	s_waitcnt lgkmcnt(0)
	s_add_u32 s10, s22, s28
	s_addc_u32 s28, s23, s29
	s_lshl_b64 s[22:23], s[0:1], 2
	s_add_u32 s1, s2, s22
	s_addc_u32 s29, s3, s23
	s_lshl_b64 s[22:23], s[14:15], 2
	s_add_u32 s1, s1, s22
	s_addc_u32 s29, s29, s23
	s_and_b32 s15, s27, 0xffff
	s_mov_b64 s[22:23], 0
	v_mov_b32_e32 v3, s28
	v_mov_b32_e32 v4, s29
	;; [unrolled: 1-line block ×3, first 2 shown]
.LBB20_6:                               ; =>This Inner Loop Header: Depth=1
	v_ashrrev_i32_e32 v2, 31, v1
	v_lshlrev_b64 v[5:6], 2, v[1:2]
	v_add_u32_e32 v1, s15, v1
	v_add_co_u32_e32 v7, vcc, s10, v5
	v_addc_co_u32_e32 v8, vcc, v3, v6, vcc
	global_load_dword v2, v[7:8], off
	v_add_co_u32_e32 v5, vcc, s1, v5
	v_addc_co_u32_e32 v6, vcc, v4, v6, vcc
	v_cmp_le_i32_e32 vcc, s12, v1
	s_or_b64 s[22:23], vcc, s[22:23]
	s_waitcnt vmcnt(0)
	global_store_dword v[5:6], v2, off
	s_andn2_b64 exec, exec, s[22:23]
	s_cbranch_execnz .LBB20_6
.LBB20_7:
	s_or_b64 exec, exec, s[20:21]
	v_cmp_gt_i32_e32 vcc, s13, v0
	s_and_saveexec_b64 s[20:21], vcc
	s_cbranch_execz .LBB20_10
; %bb.8:
	s_ashr_i32 s1, s11, 31
	s_mul_hi_u32 s10, s11, s6
	s_mul_i32 s1, s1, s6
	s_add_i32 s21, s10, s1
	s_mul_i32 s20, s11, s6
	s_ashr_i32 s1, s8, 31
	s_ashr_i32 s6, s9, 31
	s_mul_i32 s1, s16, s1
	s_mul_i32 s7, s7, s6
	s_add_i32 s1, s25, s1
	s_add_i32 s6, s17, s7
	;; [unrolled: 1-line block ×4, first 2 shown]
	s_ashr_i32 s9, s12, 31
	s_lshl_b64 s[6:7], s[20:21], 2
	s_waitcnt lgkmcnt(0)
	s_add_u32 s6, s18, s6
	s_addc_u32 s7, s19, s7
	s_lshl_b64 s[0:1], s[0:1], 2
	s_add_u32 s2, s2, s0
	s_addc_u32 s3, s3, s1
	s_lshl_b64 s[0:1], s[14:15], 2
	s_load_dword s4, s[4:5], 0x54
	s_mov_b32 s8, s12
	s_add_u32 s2, s2, s0
	s_addc_u32 s3, s3, s1
	s_lshl_b64 s[0:1], s[8:9], 2
	s_add_u32 s2, s2, s0
	s_addc_u32 s5, s3, s1
	s_waitcnt lgkmcnt(0)
	s_and_b32 s3, s4, 0xffff
	s_mov_b64 s[0:1], 0
	v_mov_b32_e32 v2, s7
	v_mov_b32_e32 v3, s5
.LBB20_9:                               ; =>This Inner Loop Header: Depth=1
	v_ashrrev_i32_e32 v1, 31, v0
	v_lshlrev_b64 v[4:5], 2, v[0:1]
	v_add_u32_e32 v0, s3, v0
	v_add_co_u32_e32 v6, vcc, s6, v4
	v_addc_co_u32_e32 v7, vcc, v2, v5, vcc
	global_load_dword v1, v[6:7], off
	v_add_co_u32_e32 v4, vcc, s2, v4
	v_addc_co_u32_e32 v5, vcc, v3, v5, vcc
	v_cmp_le_i32_e32 vcc, s13, v0
	s_or_b64 s[0:1], vcc, s[0:1]
	s_waitcnt vmcnt(0)
	global_store_dword v[4:5], v1, off
	s_andn2_b64 exec, exec, s[0:1]
	s_cbranch_execnz .LBB20_9
.LBB20_10:
	s_endpgm
.LBB20_11:
                                        ; implicit-def: $sgpr16_sgpr17
	s_load_dwordx2 s[2:3], s[4:5], 0x10
	s_branch .LBB20_3
	.section	.rodata,"a",@progbits
	.p2align	6, 0x0
	.amdhsa_kernel _ZN4vllm27concat_and_cache_mla_kernelIffLNS_18Fp8KVCacheDataTypeE0EEEvPKT_S4_PT0_PKliiiiiiiPKf
		.amdhsa_group_segment_fixed_size 0
		.amdhsa_private_segment_fixed_size 0
		.amdhsa_kernarg_size 328
		.amdhsa_user_sgpr_count 6
		.amdhsa_user_sgpr_private_segment_buffer 1
		.amdhsa_user_sgpr_dispatch_ptr 0
		.amdhsa_user_sgpr_queue_ptr 0
		.amdhsa_user_sgpr_kernarg_segment_ptr 1
		.amdhsa_user_sgpr_dispatch_id 0
		.amdhsa_user_sgpr_flat_scratch_init 0
		.amdhsa_user_sgpr_private_segment_size 0
		.amdhsa_uses_dynamic_stack 0
		.amdhsa_system_sgpr_private_segment_wavefront_offset 0
		.amdhsa_system_sgpr_workgroup_id_x 1
		.amdhsa_system_sgpr_workgroup_id_y 0
		.amdhsa_system_sgpr_workgroup_id_z 0
		.amdhsa_system_sgpr_workgroup_info 0
		.amdhsa_system_vgpr_workitem_id 0
		.amdhsa_next_free_vgpr 9
		.amdhsa_next_free_sgpr 34
		.amdhsa_reserve_vcc 1
		.amdhsa_reserve_flat_scratch 0
		.amdhsa_float_round_mode_32 0
		.amdhsa_float_round_mode_16_64 0
		.amdhsa_float_denorm_mode_32 3
		.amdhsa_float_denorm_mode_16_64 3
		.amdhsa_dx10_clamp 1
		.amdhsa_ieee_mode 1
		.amdhsa_fp16_overflow 0
		.amdhsa_exception_fp_ieee_invalid_op 0
		.amdhsa_exception_fp_denorm_src 0
		.amdhsa_exception_fp_ieee_div_zero 0
		.amdhsa_exception_fp_ieee_overflow 0
		.amdhsa_exception_fp_ieee_underflow 0
		.amdhsa_exception_fp_ieee_inexact 0
		.amdhsa_exception_int_div_zero 0
	.end_amdhsa_kernel
	.section	.text._ZN4vllm27concat_and_cache_mla_kernelIffLNS_18Fp8KVCacheDataTypeE0EEEvPKT_S4_PT0_PKliiiiiiiPKf,"axG",@progbits,_ZN4vllm27concat_and_cache_mla_kernelIffLNS_18Fp8KVCacheDataTypeE0EEEvPKT_S4_PT0_PKliiiiiiiPKf,comdat
.Lfunc_end20:
	.size	_ZN4vllm27concat_and_cache_mla_kernelIffLNS_18Fp8KVCacheDataTypeE0EEEvPKT_S4_PT0_PKliiiiiiiPKf, .Lfunc_end20-_ZN4vllm27concat_and_cache_mla_kernelIffLNS_18Fp8KVCacheDataTypeE0EEEvPKT_S4_PT0_PKliiiiiiiPKf
                                        ; -- End function
	.set _ZN4vllm27concat_and_cache_mla_kernelIffLNS_18Fp8KVCacheDataTypeE0EEEvPKT_S4_PT0_PKliiiiiiiPKf.num_vgpr, 9
	.set _ZN4vllm27concat_and_cache_mla_kernelIffLNS_18Fp8KVCacheDataTypeE0EEEvPKT_S4_PT0_PKliiiiiiiPKf.num_agpr, 0
	.set _ZN4vllm27concat_and_cache_mla_kernelIffLNS_18Fp8KVCacheDataTypeE0EEEvPKT_S4_PT0_PKliiiiiiiPKf.numbered_sgpr, 34
	.set _ZN4vllm27concat_and_cache_mla_kernelIffLNS_18Fp8KVCacheDataTypeE0EEEvPKT_S4_PT0_PKliiiiiiiPKf.num_named_barrier, 0
	.set _ZN4vllm27concat_and_cache_mla_kernelIffLNS_18Fp8KVCacheDataTypeE0EEEvPKT_S4_PT0_PKliiiiiiiPKf.private_seg_size, 0
	.set _ZN4vllm27concat_and_cache_mla_kernelIffLNS_18Fp8KVCacheDataTypeE0EEEvPKT_S4_PT0_PKliiiiiiiPKf.uses_vcc, 1
	.set _ZN4vllm27concat_and_cache_mla_kernelIffLNS_18Fp8KVCacheDataTypeE0EEEvPKT_S4_PT0_PKliiiiiiiPKf.uses_flat_scratch, 0
	.set _ZN4vllm27concat_and_cache_mla_kernelIffLNS_18Fp8KVCacheDataTypeE0EEEvPKT_S4_PT0_PKliiiiiiiPKf.has_dyn_sized_stack, 0
	.set _ZN4vllm27concat_and_cache_mla_kernelIffLNS_18Fp8KVCacheDataTypeE0EEEvPKT_S4_PT0_PKliiiiiiiPKf.has_recursion, 0
	.set _ZN4vllm27concat_and_cache_mla_kernelIffLNS_18Fp8KVCacheDataTypeE0EEEvPKT_S4_PT0_PKliiiiiiiPKf.has_indirect_call, 0
	.section	.AMDGPU.csdata,"",@progbits
; Kernel info:
; codeLenInByte = 1248
; TotalNumSgprs: 38
; NumVgprs: 9
; ScratchSize: 0
; MemoryBound: 0
; FloatMode: 240
; IeeeMode: 1
; LDSByteSize: 0 bytes/workgroup (compile time only)
; SGPRBlocks: 4
; VGPRBlocks: 2
; NumSGPRsForWavesPerEU: 38
; NumVGPRsForWavesPerEU: 9
; Occupancy: 10
; WaveLimiterHint : 1
; COMPUTE_PGM_RSRC2:SCRATCH_EN: 0
; COMPUTE_PGM_RSRC2:USER_SGPR: 6
; COMPUTE_PGM_RSRC2:TRAP_HANDLER: 0
; COMPUTE_PGM_RSRC2:TGID_X_EN: 1
; COMPUTE_PGM_RSRC2:TGID_Y_EN: 0
; COMPUTE_PGM_RSRC2:TGID_Z_EN: 0
; COMPUTE_PGM_RSRC2:TIDIG_COMP_CNT: 0
	.section	.text._ZN4vllm27concat_and_cache_mla_kernelIttLNS_18Fp8KVCacheDataTypeE0EEEvPKT_S4_PT0_PKliiiiiiiPKf,"axG",@progbits,_ZN4vllm27concat_and_cache_mla_kernelIttLNS_18Fp8KVCacheDataTypeE0EEEvPKT_S4_PT0_PKliiiiiiiPKf,comdat
	.protected	_ZN4vllm27concat_and_cache_mla_kernelIttLNS_18Fp8KVCacheDataTypeE0EEEvPKT_S4_PT0_PKliiiiiiiPKf ; -- Begin function _ZN4vllm27concat_and_cache_mla_kernelIttLNS_18Fp8KVCacheDataTypeE0EEEvPKT_S4_PT0_PKliiiiiiiPKf
	.globl	_ZN4vllm27concat_and_cache_mla_kernelIttLNS_18Fp8KVCacheDataTypeE0EEEvPKT_S4_PT0_PKliiiiiiiPKf
	.p2align	8
	.type	_ZN4vllm27concat_and_cache_mla_kernelIttLNS_18Fp8KVCacheDataTypeE0EEEvPKT_S4_PT0_PKliiiiiiiPKf,@function
_ZN4vllm27concat_and_cache_mla_kernelIttLNS_18Fp8KVCacheDataTypeE0EEEvPKT_S4_PT0_PKliiiiiiiPKf: ; @_ZN4vllm27concat_and_cache_mla_kernelIttLNS_18Fp8KVCacheDataTypeE0EEEvPKT_S4_PT0_PKliiiiiiiPKf
; %bb.0:
	s_load_dwordx2 s[0:1], s[4:5], 0x18
	s_mov_b32 s7, 0
	s_lshl_b64 s[2:3], s[6:7], 3
	s_waitcnt lgkmcnt(0)
	s_add_u32 s0, s0, s2
	s_addc_u32 s1, s1, s3
	s_load_dwordx2 s[0:1], s[0:1], 0x0
	s_waitcnt lgkmcnt(0)
	v_cmp_lt_i64_e64 s[2:3], s[0:1], 0
	s_and_b64 vcc, exec, s[2:3]
	s_cbranch_vccnz .LBB21_10
; %bb.1:
	s_load_dwordx8 s[8:15], s[4:5], 0x20
	s_waitcnt lgkmcnt(0)
	s_ashr_i32 s15, s14, 31
	s_or_b64 s[2:3], s[0:1], s[14:15]
	s_mov_b32 s2, s7
	s_cmp_lg_u64 s[2:3], 0
	s_cbranch_scc0 .LBB21_11
; %bb.2:
	s_ashr_i32 s2, s15, 31
	s_add_u32 s16, s14, s2
	s_mov_b32 s3, s2
	s_addc_u32 s17, s15, s2
	s_xor_b64 s[16:17], s[16:17], s[2:3]
	v_cvt_f32_u32_e32 v1, s16
	v_cvt_f32_u32_e32 v2, s17
	s_sub_u32 s7, 0, s16
	s_subb_u32 s22, 0, s17
	v_madmk_f32 v1, v2, 0x4f800000, v1
	v_rcp_f32_e32 v1, v1
	v_mul_f32_e32 v1, 0x5f7ffffc, v1
	v_mul_f32_e32 v2, 0x2f800000, v1
	v_trunc_f32_e32 v2, v2
	v_madmk_f32 v1, v2, 0xcf800000, v1
	v_cvt_u32_f32_e32 v2, v2
	v_cvt_u32_f32_e32 v1, v1
	v_readfirstlane_b32 s23, v2
	v_readfirstlane_b32 s20, v1
	s_mul_i32 s21, s7, s23
	s_mul_hi_u32 s25, s7, s20
	s_mul_i32 s24, s22, s20
	s_add_i32 s21, s25, s21
	s_add_i32 s21, s21, s24
	s_mul_i32 s26, s7, s20
	s_mul_i32 s25, s20, s21
	s_mul_hi_u32 s27, s20, s26
	s_mul_hi_u32 s24, s20, s21
	s_add_u32 s25, s27, s25
	s_addc_u32 s24, 0, s24
	s_mul_hi_u32 s28, s23, s26
	s_mul_i32 s26, s23, s26
	s_add_u32 s25, s25, s26
	s_mul_hi_u32 s27, s23, s21
	s_addc_u32 s24, s24, s28
	s_addc_u32 s25, s27, 0
	s_mul_i32 s21, s23, s21
	s_add_u32 s21, s24, s21
	s_addc_u32 s24, 0, s25
	s_add_u32 s25, s20, s21
	s_cselect_b64 s[20:21], -1, 0
	s_cmp_lg_u64 s[20:21], 0
	s_addc_u32 s23, s23, s24
	s_mul_i32 s20, s7, s23
	s_mul_hi_u32 s21, s7, s25
	s_add_i32 s20, s21, s20
	s_mul_i32 s22, s22, s25
	s_add_i32 s20, s20, s22
	s_mul_i32 s7, s7, s25
	s_mul_hi_u32 s22, s23, s7
	s_mul_i32 s24, s23, s7
	s_mul_i32 s27, s25, s20
	s_mul_hi_u32 s7, s25, s7
	s_mul_hi_u32 s26, s25, s20
	s_add_u32 s7, s7, s27
	s_addc_u32 s26, 0, s26
	s_add_u32 s7, s7, s24
	s_mul_hi_u32 s21, s23, s20
	s_addc_u32 s7, s26, s22
	s_addc_u32 s21, s21, 0
	s_mul_i32 s20, s23, s20
	s_add_u32 s7, s7, s20
	s_addc_u32 s22, 0, s21
	s_add_u32 s7, s25, s7
	s_cselect_b64 s[20:21], -1, 0
	s_cmp_lg_u64 s[20:21], 0
	s_addc_u32 s24, s23, s22
	s_ashr_i32 s20, s1, 31
	s_add_u32 s22, s0, s20
	s_mov_b32 s21, s20
	s_addc_u32 s23, s1, s20
	s_xor_b64 s[22:23], s[22:23], s[20:21]
	s_mul_i32 s26, s22, s24
	s_mul_hi_u32 s27, s22, s7
	s_mul_hi_u32 s25, s22, s24
	s_add_u32 s26, s27, s26
	s_addc_u32 s25, 0, s25
	s_mul_hi_u32 s28, s23, s7
	s_mul_i32 s7, s23, s7
	s_add_u32 s7, s26, s7
	s_mul_hi_u32 s27, s23, s24
	s_addc_u32 s7, s25, s28
	s_addc_u32 s25, s27, 0
	s_mul_i32 s24, s23, s24
	s_add_u32 s7, s7, s24
	s_addc_u32 s28, 0, s25
	s_mul_i32 s24, s16, s28
	s_mul_hi_u32 s25, s16, s7
	s_add_i32 s24, s25, s24
	s_mul_i32 s25, s17, s7
	s_add_i32 s29, s24, s25
	s_sub_i32 s26, s23, s29
	s_mul_i32 s24, s16, s7
	s_sub_u32 s22, s22, s24
	s_cselect_b64 s[24:25], -1, 0
	s_cmp_lg_u64 s[24:25], 0
	s_subb_u32 s30, s26, s17
	s_sub_u32 s31, s22, s16
	s_cselect_b64 s[26:27], -1, 0
	s_cmp_lg_u64 s[26:27], 0
	s_subb_u32 s26, s30, 0
	s_cmp_ge_u32 s26, s17
	s_cselect_b32 s27, -1, 0
	s_cmp_ge_u32 s31, s16
	s_cselect_b32 s30, -1, 0
	s_cmp_eq_u32 s26, s17
	s_cselect_b32 s26, s30, s27
	s_add_u32 s27, s7, 1
	s_addc_u32 s30, s28, 0
	s_add_u32 s31, s7, 2
	s_addc_u32 s33, s28, 0
	s_cmp_lg_u32 s26, 0
	s_cselect_b32 s26, s31, s27
	s_cselect_b32 s27, s33, s30
	s_cmp_lg_u64 s[24:25], 0
	s_subb_u32 s23, s23, s29
	s_cmp_ge_u32 s23, s17
	s_cselect_b32 s24, -1, 0
	s_cmp_ge_u32 s22, s16
	s_cselect_b32 s16, -1, 0
	s_cmp_eq_u32 s23, s17
	s_cselect_b32 s16, s16, s24
	s_cmp_lg_u32 s16, 0
	s_cselect_b32 s17, s27, s28
	s_cselect_b32 s16, s26, s7
	s_xor_b64 s[2:3], s[20:21], s[2:3]
	s_xor_b64 s[16:17], s[16:17], s[2:3]
	s_sub_u32 s16, s16, s2
	s_subb_u32 s17, s17, s3
	s_load_dwordx2 s[2:3], s[4:5], 0x10
	s_cbranch_execnz .LBB21_4
.LBB21_3:
	v_cvt_f32_u32_e32 v1, s14
	s_sub_i32 s7, 0, s14
	s_mov_b32 s17, 0
	v_rcp_iflag_f32_e32 v1, v1
	v_mul_f32_e32 v1, 0x4f7ffffe, v1
	v_cvt_u32_f32_e32 v1, v1
	v_readfirstlane_b32 s16, v1
	s_mul_i32 s7, s7, s16
	s_mul_hi_u32 s7, s16, s7
	s_add_i32 s16, s16, s7
	s_mul_hi_u32 s7, s0, s16
	s_mul_i32 s18, s7, s14
	s_sub_i32 s18, s0, s18
	s_add_i32 s16, s7, 1
	s_sub_i32 s19, s18, s14
	s_cmp_ge_u32 s18, s14
	s_cselect_b32 s7, s16, s7
	s_cselect_b32 s18, s19, s18
	s_add_i32 s16, s7, 1
	s_cmp_ge_u32 s18, s14
	s_cselect_b32 s16, s16, s7
.LBB21_4:
	s_mul_i32 s7, s16, s15
	s_mul_hi_u32 s15, s16, s14
	s_load_dwordx2 s[18:19], s[4:5], 0x8
	s_add_i32 s7, s15, s7
	s_mul_i32 s15, s17, s14
	s_add_i32 s15, s7, s15
	s_mul_i32 s7, s16, s14
	s_sub_u32 s7, s0, s7
	s_subb_u32 s24, s1, s15
	v_cmp_gt_i32_e32 vcc, s12, v0
	s_mul_hi_u32 s25, s16, s8
	s_mul_i32 s26, s17, s8
	s_mul_i32 s0, s16, s8
	s_mul_hi_u32 s17, s7, s9
	s_mul_i32 s24, s24, s9
	s_mul_i32 s14, s7, s9
	s_and_saveexec_b64 s[20:21], vcc
	s_cbranch_execz .LBB21_7
; %bb.5:
	s_ashr_i32 s1, s10, 31
	s_load_dwordx2 s[22:23], s[4:5], 0x0
	s_load_dword s27, s[4:5], 0x54
	s_mul_hi_u32 s15, s10, s6
	s_mul_i32 s1, s1, s6
	s_add_i32 s29, s15, s1
	s_mul_i32 s28, s10, s6
	s_ashr_i32 s1, s8, 31
	s_ashr_i32 s10, s9, 31
	s_mul_i32 s1, s16, s1
	s_mul_i32 s10, s7, s10
	s_add_i32 s1, s25, s1
	s_add_i32 s10, s17, s10
	;; [unrolled: 1-line block ×4, first 2 shown]
	s_lshl_b64 s[28:29], s[28:29], 1
	s_waitcnt lgkmcnt(0)
	s_add_u32 s10, s22, s28
	s_addc_u32 s28, s23, s29
	s_lshl_b64 s[22:23], s[0:1], 1
	s_add_u32 s1, s2, s22
	s_addc_u32 s29, s3, s23
	s_lshl_b64 s[22:23], s[14:15], 1
	s_add_u32 s1, s1, s22
	s_addc_u32 s29, s29, s23
	s_and_b32 s15, s27, 0xffff
	s_mov_b64 s[22:23], 0
	v_mov_b32_e32 v3, s28
	v_mov_b32_e32 v4, s29
	;; [unrolled: 1-line block ×3, first 2 shown]
.LBB21_6:                               ; =>This Inner Loop Header: Depth=1
	v_ashrrev_i32_e32 v2, 31, v1
	v_lshlrev_b64 v[5:6], 1, v[1:2]
	v_add_u32_e32 v1, s15, v1
	v_add_co_u32_e32 v7, vcc, s10, v5
	v_addc_co_u32_e32 v8, vcc, v3, v6, vcc
	global_load_ushort v2, v[7:8], off
	v_add_co_u32_e32 v5, vcc, s1, v5
	v_addc_co_u32_e32 v6, vcc, v4, v6, vcc
	v_cmp_le_i32_e32 vcc, s12, v1
	s_or_b64 s[22:23], vcc, s[22:23]
	s_waitcnt vmcnt(0)
	global_store_short v[5:6], v2, off
	s_andn2_b64 exec, exec, s[22:23]
	s_cbranch_execnz .LBB21_6
.LBB21_7:
	s_or_b64 exec, exec, s[20:21]
	v_cmp_gt_i32_e32 vcc, s13, v0
	s_and_saveexec_b64 s[20:21], vcc
	s_cbranch_execz .LBB21_10
; %bb.8:
	s_ashr_i32 s1, s11, 31
	s_mul_hi_u32 s10, s11, s6
	s_mul_i32 s1, s1, s6
	s_add_i32 s21, s10, s1
	s_mul_i32 s20, s11, s6
	s_ashr_i32 s1, s8, 31
	s_ashr_i32 s6, s9, 31
	s_mul_i32 s1, s16, s1
	s_mul_i32 s7, s7, s6
	s_add_i32 s1, s25, s1
	s_add_i32 s6, s17, s7
	;; [unrolled: 1-line block ×4, first 2 shown]
	s_ashr_i32 s9, s12, 31
	s_lshl_b64 s[6:7], s[20:21], 1
	s_waitcnt lgkmcnt(0)
	s_add_u32 s6, s18, s6
	s_addc_u32 s7, s19, s7
	s_lshl_b64 s[0:1], s[0:1], 1
	s_add_u32 s2, s2, s0
	s_addc_u32 s3, s3, s1
	s_lshl_b64 s[0:1], s[14:15], 1
	s_load_dword s4, s[4:5], 0x54
	s_mov_b32 s8, s12
	s_add_u32 s2, s2, s0
	s_addc_u32 s3, s3, s1
	s_lshl_b64 s[0:1], s[8:9], 1
	s_add_u32 s2, s2, s0
	s_addc_u32 s5, s3, s1
	s_waitcnt lgkmcnt(0)
	s_and_b32 s3, s4, 0xffff
	s_mov_b64 s[0:1], 0
	v_mov_b32_e32 v2, s7
	v_mov_b32_e32 v3, s5
.LBB21_9:                               ; =>This Inner Loop Header: Depth=1
	v_ashrrev_i32_e32 v1, 31, v0
	v_lshlrev_b64 v[4:5], 1, v[0:1]
	v_add_u32_e32 v0, s3, v0
	v_add_co_u32_e32 v6, vcc, s6, v4
	v_addc_co_u32_e32 v7, vcc, v2, v5, vcc
	global_load_ushort v1, v[6:7], off
	v_add_co_u32_e32 v4, vcc, s2, v4
	v_addc_co_u32_e32 v5, vcc, v3, v5, vcc
	v_cmp_le_i32_e32 vcc, s13, v0
	s_or_b64 s[0:1], vcc, s[0:1]
	s_waitcnt vmcnt(0)
	global_store_short v[4:5], v1, off
	s_andn2_b64 exec, exec, s[0:1]
	s_cbranch_execnz .LBB21_9
.LBB21_10:
	s_endpgm
.LBB21_11:
                                        ; implicit-def: $sgpr16_sgpr17
	s_load_dwordx2 s[2:3], s[4:5], 0x10
	s_branch .LBB21_3
	.section	.rodata,"a",@progbits
	.p2align	6, 0x0
	.amdhsa_kernel _ZN4vllm27concat_and_cache_mla_kernelIttLNS_18Fp8KVCacheDataTypeE0EEEvPKT_S4_PT0_PKliiiiiiiPKf
		.amdhsa_group_segment_fixed_size 0
		.amdhsa_private_segment_fixed_size 0
		.amdhsa_kernarg_size 328
		.amdhsa_user_sgpr_count 6
		.amdhsa_user_sgpr_private_segment_buffer 1
		.amdhsa_user_sgpr_dispatch_ptr 0
		.amdhsa_user_sgpr_queue_ptr 0
		.amdhsa_user_sgpr_kernarg_segment_ptr 1
		.amdhsa_user_sgpr_dispatch_id 0
		.amdhsa_user_sgpr_flat_scratch_init 0
		.amdhsa_user_sgpr_private_segment_size 0
		.amdhsa_uses_dynamic_stack 0
		.amdhsa_system_sgpr_private_segment_wavefront_offset 0
		.amdhsa_system_sgpr_workgroup_id_x 1
		.amdhsa_system_sgpr_workgroup_id_y 0
		.amdhsa_system_sgpr_workgroup_id_z 0
		.amdhsa_system_sgpr_workgroup_info 0
		.amdhsa_system_vgpr_workitem_id 0
		.amdhsa_next_free_vgpr 9
		.amdhsa_next_free_sgpr 34
		.amdhsa_reserve_vcc 1
		.amdhsa_reserve_flat_scratch 0
		.amdhsa_float_round_mode_32 0
		.amdhsa_float_round_mode_16_64 0
		.amdhsa_float_denorm_mode_32 3
		.amdhsa_float_denorm_mode_16_64 3
		.amdhsa_dx10_clamp 1
		.amdhsa_ieee_mode 1
		.amdhsa_fp16_overflow 0
		.amdhsa_exception_fp_ieee_invalid_op 0
		.amdhsa_exception_fp_denorm_src 0
		.amdhsa_exception_fp_ieee_div_zero 0
		.amdhsa_exception_fp_ieee_overflow 0
		.amdhsa_exception_fp_ieee_underflow 0
		.amdhsa_exception_fp_ieee_inexact 0
		.amdhsa_exception_int_div_zero 0
	.end_amdhsa_kernel
	.section	.text._ZN4vllm27concat_and_cache_mla_kernelIttLNS_18Fp8KVCacheDataTypeE0EEEvPKT_S4_PT0_PKliiiiiiiPKf,"axG",@progbits,_ZN4vllm27concat_and_cache_mla_kernelIttLNS_18Fp8KVCacheDataTypeE0EEEvPKT_S4_PT0_PKliiiiiiiPKf,comdat
.Lfunc_end21:
	.size	_ZN4vllm27concat_and_cache_mla_kernelIttLNS_18Fp8KVCacheDataTypeE0EEEvPKT_S4_PT0_PKliiiiiiiPKf, .Lfunc_end21-_ZN4vllm27concat_and_cache_mla_kernelIttLNS_18Fp8KVCacheDataTypeE0EEEvPKT_S4_PT0_PKliiiiiiiPKf
                                        ; -- End function
	.set _ZN4vllm27concat_and_cache_mla_kernelIttLNS_18Fp8KVCacheDataTypeE0EEEvPKT_S4_PT0_PKliiiiiiiPKf.num_vgpr, 9
	.set _ZN4vllm27concat_and_cache_mla_kernelIttLNS_18Fp8KVCacheDataTypeE0EEEvPKT_S4_PT0_PKliiiiiiiPKf.num_agpr, 0
	.set _ZN4vllm27concat_and_cache_mla_kernelIttLNS_18Fp8KVCacheDataTypeE0EEEvPKT_S4_PT0_PKliiiiiiiPKf.numbered_sgpr, 34
	.set _ZN4vllm27concat_and_cache_mla_kernelIttLNS_18Fp8KVCacheDataTypeE0EEEvPKT_S4_PT0_PKliiiiiiiPKf.num_named_barrier, 0
	.set _ZN4vllm27concat_and_cache_mla_kernelIttLNS_18Fp8KVCacheDataTypeE0EEEvPKT_S4_PT0_PKliiiiiiiPKf.private_seg_size, 0
	.set _ZN4vllm27concat_and_cache_mla_kernelIttLNS_18Fp8KVCacheDataTypeE0EEEvPKT_S4_PT0_PKliiiiiiiPKf.uses_vcc, 1
	.set _ZN4vllm27concat_and_cache_mla_kernelIttLNS_18Fp8KVCacheDataTypeE0EEEvPKT_S4_PT0_PKliiiiiiiPKf.uses_flat_scratch, 0
	.set _ZN4vllm27concat_and_cache_mla_kernelIttLNS_18Fp8KVCacheDataTypeE0EEEvPKT_S4_PT0_PKliiiiiiiPKf.has_dyn_sized_stack, 0
	.set _ZN4vllm27concat_and_cache_mla_kernelIttLNS_18Fp8KVCacheDataTypeE0EEEvPKT_S4_PT0_PKliiiiiiiPKf.has_recursion, 0
	.set _ZN4vllm27concat_and_cache_mla_kernelIttLNS_18Fp8KVCacheDataTypeE0EEEvPKT_S4_PT0_PKliiiiiiiPKf.has_indirect_call, 0
	.section	.AMDGPU.csdata,"",@progbits
; Kernel info:
; codeLenInByte = 1248
; TotalNumSgprs: 38
; NumVgprs: 9
; ScratchSize: 0
; MemoryBound: 0
; FloatMode: 240
; IeeeMode: 1
; LDSByteSize: 0 bytes/workgroup (compile time only)
; SGPRBlocks: 4
; VGPRBlocks: 2
; NumSGPRsForWavesPerEU: 38
; NumVGPRsForWavesPerEU: 9
; Occupancy: 10
; WaveLimiterHint : 1
; COMPUTE_PGM_RSRC2:SCRATCH_EN: 0
; COMPUTE_PGM_RSRC2:USER_SGPR: 6
; COMPUTE_PGM_RSRC2:TRAP_HANDLER: 0
; COMPUTE_PGM_RSRC2:TGID_X_EN: 1
; COMPUTE_PGM_RSRC2:TGID_Y_EN: 0
; COMPUTE_PGM_RSRC2:TGID_Z_EN: 0
; COMPUTE_PGM_RSRC2:TIDIG_COMP_CNT: 0
	.section	.text._ZN4vllm27concat_and_cache_mla_kernelI14__hip_bfloat16S1_LNS_18Fp8KVCacheDataTypeE0EEEvPKT_S5_PT0_PKliiiiiiiPKf,"axG",@progbits,_ZN4vllm27concat_and_cache_mla_kernelI14__hip_bfloat16S1_LNS_18Fp8KVCacheDataTypeE0EEEvPKT_S5_PT0_PKliiiiiiiPKf,comdat
	.protected	_ZN4vllm27concat_and_cache_mla_kernelI14__hip_bfloat16S1_LNS_18Fp8KVCacheDataTypeE0EEEvPKT_S5_PT0_PKliiiiiiiPKf ; -- Begin function _ZN4vllm27concat_and_cache_mla_kernelI14__hip_bfloat16S1_LNS_18Fp8KVCacheDataTypeE0EEEvPKT_S5_PT0_PKliiiiiiiPKf
	.globl	_ZN4vllm27concat_and_cache_mla_kernelI14__hip_bfloat16S1_LNS_18Fp8KVCacheDataTypeE0EEEvPKT_S5_PT0_PKliiiiiiiPKf
	.p2align	8
	.type	_ZN4vllm27concat_and_cache_mla_kernelI14__hip_bfloat16S1_LNS_18Fp8KVCacheDataTypeE0EEEvPKT_S5_PT0_PKliiiiiiiPKf,@function
_ZN4vllm27concat_and_cache_mla_kernelI14__hip_bfloat16S1_LNS_18Fp8KVCacheDataTypeE0EEEvPKT_S5_PT0_PKliiiiiiiPKf: ; @_ZN4vllm27concat_and_cache_mla_kernelI14__hip_bfloat16S1_LNS_18Fp8KVCacheDataTypeE0EEEvPKT_S5_PT0_PKliiiiiiiPKf
; %bb.0:
	s_load_dwordx2 s[0:1], s[4:5], 0x18
	s_mov_b32 s7, 0
	s_lshl_b64 s[2:3], s[6:7], 3
	s_waitcnt lgkmcnt(0)
	s_add_u32 s0, s0, s2
	s_addc_u32 s1, s1, s3
	s_load_dwordx2 s[0:1], s[0:1], 0x0
	s_waitcnt lgkmcnt(0)
	v_cmp_lt_i64_e64 s[2:3], s[0:1], 0
	s_and_b64 vcc, exec, s[2:3]
	s_cbranch_vccnz .LBB22_10
; %bb.1:
	s_load_dwordx8 s[8:15], s[4:5], 0x20
	s_waitcnt lgkmcnt(0)
	s_ashr_i32 s15, s14, 31
	s_or_b64 s[2:3], s[0:1], s[14:15]
	s_mov_b32 s2, s7
	s_cmp_lg_u64 s[2:3], 0
	s_cbranch_scc0 .LBB22_11
; %bb.2:
	s_ashr_i32 s2, s15, 31
	s_add_u32 s16, s14, s2
	s_mov_b32 s3, s2
	s_addc_u32 s17, s15, s2
	s_xor_b64 s[16:17], s[16:17], s[2:3]
	v_cvt_f32_u32_e32 v1, s16
	v_cvt_f32_u32_e32 v2, s17
	s_sub_u32 s7, 0, s16
	s_subb_u32 s22, 0, s17
	v_madmk_f32 v1, v2, 0x4f800000, v1
	v_rcp_f32_e32 v1, v1
	v_mul_f32_e32 v1, 0x5f7ffffc, v1
	v_mul_f32_e32 v2, 0x2f800000, v1
	v_trunc_f32_e32 v2, v2
	v_madmk_f32 v1, v2, 0xcf800000, v1
	v_cvt_u32_f32_e32 v2, v2
	v_cvt_u32_f32_e32 v1, v1
	v_readfirstlane_b32 s23, v2
	v_readfirstlane_b32 s20, v1
	s_mul_i32 s21, s7, s23
	s_mul_hi_u32 s25, s7, s20
	s_mul_i32 s24, s22, s20
	s_add_i32 s21, s25, s21
	s_add_i32 s21, s21, s24
	s_mul_i32 s26, s7, s20
	s_mul_i32 s25, s20, s21
	s_mul_hi_u32 s27, s20, s26
	s_mul_hi_u32 s24, s20, s21
	s_add_u32 s25, s27, s25
	s_addc_u32 s24, 0, s24
	s_mul_hi_u32 s28, s23, s26
	s_mul_i32 s26, s23, s26
	s_add_u32 s25, s25, s26
	s_mul_hi_u32 s27, s23, s21
	s_addc_u32 s24, s24, s28
	s_addc_u32 s25, s27, 0
	s_mul_i32 s21, s23, s21
	s_add_u32 s21, s24, s21
	s_addc_u32 s24, 0, s25
	s_add_u32 s25, s20, s21
	s_cselect_b64 s[20:21], -1, 0
	s_cmp_lg_u64 s[20:21], 0
	s_addc_u32 s23, s23, s24
	s_mul_i32 s20, s7, s23
	s_mul_hi_u32 s21, s7, s25
	s_add_i32 s20, s21, s20
	s_mul_i32 s22, s22, s25
	s_add_i32 s20, s20, s22
	s_mul_i32 s7, s7, s25
	s_mul_hi_u32 s22, s23, s7
	s_mul_i32 s24, s23, s7
	s_mul_i32 s27, s25, s20
	s_mul_hi_u32 s7, s25, s7
	s_mul_hi_u32 s26, s25, s20
	s_add_u32 s7, s7, s27
	s_addc_u32 s26, 0, s26
	s_add_u32 s7, s7, s24
	s_mul_hi_u32 s21, s23, s20
	s_addc_u32 s7, s26, s22
	s_addc_u32 s21, s21, 0
	s_mul_i32 s20, s23, s20
	s_add_u32 s7, s7, s20
	s_addc_u32 s22, 0, s21
	s_add_u32 s7, s25, s7
	s_cselect_b64 s[20:21], -1, 0
	s_cmp_lg_u64 s[20:21], 0
	s_addc_u32 s24, s23, s22
	s_ashr_i32 s20, s1, 31
	s_add_u32 s22, s0, s20
	s_mov_b32 s21, s20
	s_addc_u32 s23, s1, s20
	s_xor_b64 s[22:23], s[22:23], s[20:21]
	s_mul_i32 s26, s22, s24
	s_mul_hi_u32 s27, s22, s7
	s_mul_hi_u32 s25, s22, s24
	s_add_u32 s26, s27, s26
	s_addc_u32 s25, 0, s25
	s_mul_hi_u32 s28, s23, s7
	s_mul_i32 s7, s23, s7
	s_add_u32 s7, s26, s7
	s_mul_hi_u32 s27, s23, s24
	s_addc_u32 s7, s25, s28
	s_addc_u32 s25, s27, 0
	s_mul_i32 s24, s23, s24
	s_add_u32 s7, s7, s24
	s_addc_u32 s28, 0, s25
	s_mul_i32 s24, s16, s28
	s_mul_hi_u32 s25, s16, s7
	s_add_i32 s24, s25, s24
	s_mul_i32 s25, s17, s7
	s_add_i32 s29, s24, s25
	s_sub_i32 s26, s23, s29
	s_mul_i32 s24, s16, s7
	s_sub_u32 s22, s22, s24
	s_cselect_b64 s[24:25], -1, 0
	s_cmp_lg_u64 s[24:25], 0
	s_subb_u32 s30, s26, s17
	s_sub_u32 s31, s22, s16
	s_cselect_b64 s[26:27], -1, 0
	s_cmp_lg_u64 s[26:27], 0
	s_subb_u32 s26, s30, 0
	s_cmp_ge_u32 s26, s17
	s_cselect_b32 s27, -1, 0
	s_cmp_ge_u32 s31, s16
	s_cselect_b32 s30, -1, 0
	s_cmp_eq_u32 s26, s17
	s_cselect_b32 s26, s30, s27
	s_add_u32 s27, s7, 1
	s_addc_u32 s30, s28, 0
	s_add_u32 s31, s7, 2
	s_addc_u32 s33, s28, 0
	s_cmp_lg_u32 s26, 0
	s_cselect_b32 s26, s31, s27
	s_cselect_b32 s27, s33, s30
	s_cmp_lg_u64 s[24:25], 0
	s_subb_u32 s23, s23, s29
	s_cmp_ge_u32 s23, s17
	s_cselect_b32 s24, -1, 0
	s_cmp_ge_u32 s22, s16
	s_cselect_b32 s16, -1, 0
	s_cmp_eq_u32 s23, s17
	s_cselect_b32 s16, s16, s24
	s_cmp_lg_u32 s16, 0
	s_cselect_b32 s17, s27, s28
	s_cselect_b32 s16, s26, s7
	s_xor_b64 s[2:3], s[20:21], s[2:3]
	s_xor_b64 s[16:17], s[16:17], s[2:3]
	s_sub_u32 s16, s16, s2
	s_subb_u32 s17, s17, s3
	s_load_dwordx2 s[2:3], s[4:5], 0x10
	s_cbranch_execnz .LBB22_4
.LBB22_3:
	v_cvt_f32_u32_e32 v1, s14
	s_sub_i32 s7, 0, s14
	s_mov_b32 s17, 0
	v_rcp_iflag_f32_e32 v1, v1
	v_mul_f32_e32 v1, 0x4f7ffffe, v1
	v_cvt_u32_f32_e32 v1, v1
	v_readfirstlane_b32 s16, v1
	s_mul_i32 s7, s7, s16
	s_mul_hi_u32 s7, s16, s7
	s_add_i32 s16, s16, s7
	s_mul_hi_u32 s7, s0, s16
	s_mul_i32 s18, s7, s14
	s_sub_i32 s18, s0, s18
	s_add_i32 s16, s7, 1
	s_sub_i32 s19, s18, s14
	s_cmp_ge_u32 s18, s14
	s_cselect_b32 s7, s16, s7
	s_cselect_b32 s18, s19, s18
	s_add_i32 s16, s7, 1
	s_cmp_ge_u32 s18, s14
	s_cselect_b32 s16, s16, s7
.LBB22_4:
	s_mul_i32 s7, s16, s15
	s_mul_hi_u32 s15, s16, s14
	s_load_dwordx2 s[18:19], s[4:5], 0x8
	s_add_i32 s7, s15, s7
	s_mul_i32 s15, s17, s14
	s_add_i32 s15, s7, s15
	s_mul_i32 s7, s16, s14
	s_sub_u32 s7, s0, s7
	s_subb_u32 s24, s1, s15
	v_cmp_gt_i32_e32 vcc, s12, v0
	s_mul_hi_u32 s25, s16, s8
	s_mul_i32 s26, s17, s8
	s_mul_i32 s0, s16, s8
	s_mul_hi_u32 s17, s7, s9
	s_mul_i32 s24, s24, s9
	s_mul_i32 s14, s7, s9
	s_and_saveexec_b64 s[20:21], vcc
	s_cbranch_execz .LBB22_7
; %bb.5:
	s_ashr_i32 s1, s10, 31
	s_load_dwordx2 s[22:23], s[4:5], 0x0
	s_load_dword s27, s[4:5], 0x54
	s_mul_hi_u32 s15, s10, s6
	s_mul_i32 s1, s1, s6
	s_add_i32 s29, s15, s1
	s_mul_i32 s28, s10, s6
	s_ashr_i32 s1, s8, 31
	s_ashr_i32 s10, s9, 31
	s_mul_i32 s1, s16, s1
	s_mul_i32 s10, s7, s10
	s_add_i32 s1, s25, s1
	s_add_i32 s10, s17, s10
	s_add_i32 s1, s1, s26
	s_add_i32 s15, s10, s24
	s_lshl_b64 s[28:29], s[28:29], 1
	s_waitcnt lgkmcnt(0)
	s_add_u32 s10, s22, s28
	s_addc_u32 s28, s23, s29
	s_lshl_b64 s[22:23], s[0:1], 1
	s_add_u32 s1, s2, s22
	s_addc_u32 s29, s3, s23
	s_lshl_b64 s[22:23], s[14:15], 1
	s_add_u32 s1, s1, s22
	s_addc_u32 s29, s29, s23
	s_and_b32 s15, s27, 0xffff
	s_mov_b64 s[22:23], 0
	v_mov_b32_e32 v3, s28
	v_mov_b32_e32 v4, s29
	v_mov_b32_e32 v1, v0
.LBB22_6:                               ; =>This Inner Loop Header: Depth=1
	v_ashrrev_i32_e32 v2, 31, v1
	v_lshlrev_b64 v[5:6], 1, v[1:2]
	v_add_u32_e32 v1, s15, v1
	v_add_co_u32_e32 v7, vcc, s10, v5
	v_addc_co_u32_e32 v8, vcc, v3, v6, vcc
	global_load_ushort v2, v[7:8], off
	v_add_co_u32_e32 v5, vcc, s1, v5
	v_addc_co_u32_e32 v6, vcc, v4, v6, vcc
	v_cmp_le_i32_e32 vcc, s12, v1
	s_or_b64 s[22:23], vcc, s[22:23]
	s_waitcnt vmcnt(0)
	global_store_short v[5:6], v2, off
	s_andn2_b64 exec, exec, s[22:23]
	s_cbranch_execnz .LBB22_6
.LBB22_7:
	s_or_b64 exec, exec, s[20:21]
	v_cmp_gt_i32_e32 vcc, s13, v0
	s_and_saveexec_b64 s[20:21], vcc
	s_cbranch_execz .LBB22_10
; %bb.8:
	s_ashr_i32 s1, s11, 31
	s_mul_hi_u32 s10, s11, s6
	s_mul_i32 s1, s1, s6
	s_add_i32 s21, s10, s1
	s_mul_i32 s20, s11, s6
	s_ashr_i32 s1, s8, 31
	s_ashr_i32 s6, s9, 31
	s_mul_i32 s1, s16, s1
	s_mul_i32 s7, s7, s6
	s_add_i32 s1, s25, s1
	s_add_i32 s6, s17, s7
	;; [unrolled: 1-line block ×4, first 2 shown]
	s_ashr_i32 s9, s12, 31
	s_lshl_b64 s[6:7], s[20:21], 1
	s_waitcnt lgkmcnt(0)
	s_add_u32 s6, s18, s6
	s_addc_u32 s7, s19, s7
	s_lshl_b64 s[0:1], s[0:1], 1
	s_add_u32 s2, s2, s0
	s_addc_u32 s3, s3, s1
	s_lshl_b64 s[0:1], s[14:15], 1
	s_load_dword s4, s[4:5], 0x54
	s_mov_b32 s8, s12
	s_add_u32 s2, s2, s0
	s_addc_u32 s3, s3, s1
	s_lshl_b64 s[0:1], s[8:9], 1
	s_add_u32 s2, s2, s0
	s_addc_u32 s5, s3, s1
	s_waitcnt lgkmcnt(0)
	s_and_b32 s3, s4, 0xffff
	s_mov_b64 s[0:1], 0
	v_mov_b32_e32 v2, s7
	v_mov_b32_e32 v3, s5
.LBB22_9:                               ; =>This Inner Loop Header: Depth=1
	v_ashrrev_i32_e32 v1, 31, v0
	v_lshlrev_b64 v[4:5], 1, v[0:1]
	v_add_u32_e32 v0, s3, v0
	v_add_co_u32_e32 v6, vcc, s6, v4
	v_addc_co_u32_e32 v7, vcc, v2, v5, vcc
	global_load_ushort v1, v[6:7], off
	v_add_co_u32_e32 v4, vcc, s2, v4
	v_addc_co_u32_e32 v5, vcc, v3, v5, vcc
	v_cmp_le_i32_e32 vcc, s13, v0
	s_or_b64 s[0:1], vcc, s[0:1]
	s_waitcnt vmcnt(0)
	global_store_short v[4:5], v1, off
	s_andn2_b64 exec, exec, s[0:1]
	s_cbranch_execnz .LBB22_9
.LBB22_10:
	s_endpgm
.LBB22_11:
                                        ; implicit-def: $sgpr16_sgpr17
	s_load_dwordx2 s[2:3], s[4:5], 0x10
	s_branch .LBB22_3
	.section	.rodata,"a",@progbits
	.p2align	6, 0x0
	.amdhsa_kernel _ZN4vllm27concat_and_cache_mla_kernelI14__hip_bfloat16S1_LNS_18Fp8KVCacheDataTypeE0EEEvPKT_S5_PT0_PKliiiiiiiPKf
		.amdhsa_group_segment_fixed_size 0
		.amdhsa_private_segment_fixed_size 0
		.amdhsa_kernarg_size 328
		.amdhsa_user_sgpr_count 6
		.amdhsa_user_sgpr_private_segment_buffer 1
		.amdhsa_user_sgpr_dispatch_ptr 0
		.amdhsa_user_sgpr_queue_ptr 0
		.amdhsa_user_sgpr_kernarg_segment_ptr 1
		.amdhsa_user_sgpr_dispatch_id 0
		.amdhsa_user_sgpr_flat_scratch_init 0
		.amdhsa_user_sgpr_private_segment_size 0
		.amdhsa_uses_dynamic_stack 0
		.amdhsa_system_sgpr_private_segment_wavefront_offset 0
		.amdhsa_system_sgpr_workgroup_id_x 1
		.amdhsa_system_sgpr_workgroup_id_y 0
		.amdhsa_system_sgpr_workgroup_id_z 0
		.amdhsa_system_sgpr_workgroup_info 0
		.amdhsa_system_vgpr_workitem_id 0
		.amdhsa_next_free_vgpr 9
		.amdhsa_next_free_sgpr 34
		.amdhsa_reserve_vcc 1
		.amdhsa_reserve_flat_scratch 0
		.amdhsa_float_round_mode_32 0
		.amdhsa_float_round_mode_16_64 0
		.amdhsa_float_denorm_mode_32 3
		.amdhsa_float_denorm_mode_16_64 3
		.amdhsa_dx10_clamp 1
		.amdhsa_ieee_mode 1
		.amdhsa_fp16_overflow 0
		.amdhsa_exception_fp_ieee_invalid_op 0
		.amdhsa_exception_fp_denorm_src 0
		.amdhsa_exception_fp_ieee_div_zero 0
		.amdhsa_exception_fp_ieee_overflow 0
		.amdhsa_exception_fp_ieee_underflow 0
		.amdhsa_exception_fp_ieee_inexact 0
		.amdhsa_exception_int_div_zero 0
	.end_amdhsa_kernel
	.section	.text._ZN4vllm27concat_and_cache_mla_kernelI14__hip_bfloat16S1_LNS_18Fp8KVCacheDataTypeE0EEEvPKT_S5_PT0_PKliiiiiiiPKf,"axG",@progbits,_ZN4vllm27concat_and_cache_mla_kernelI14__hip_bfloat16S1_LNS_18Fp8KVCacheDataTypeE0EEEvPKT_S5_PT0_PKliiiiiiiPKf,comdat
.Lfunc_end22:
	.size	_ZN4vllm27concat_and_cache_mla_kernelI14__hip_bfloat16S1_LNS_18Fp8KVCacheDataTypeE0EEEvPKT_S5_PT0_PKliiiiiiiPKf, .Lfunc_end22-_ZN4vllm27concat_and_cache_mla_kernelI14__hip_bfloat16S1_LNS_18Fp8KVCacheDataTypeE0EEEvPKT_S5_PT0_PKliiiiiiiPKf
                                        ; -- End function
	.set _ZN4vllm27concat_and_cache_mla_kernelI14__hip_bfloat16S1_LNS_18Fp8KVCacheDataTypeE0EEEvPKT_S5_PT0_PKliiiiiiiPKf.num_vgpr, 9
	.set _ZN4vllm27concat_and_cache_mla_kernelI14__hip_bfloat16S1_LNS_18Fp8KVCacheDataTypeE0EEEvPKT_S5_PT0_PKliiiiiiiPKf.num_agpr, 0
	.set _ZN4vllm27concat_and_cache_mla_kernelI14__hip_bfloat16S1_LNS_18Fp8KVCacheDataTypeE0EEEvPKT_S5_PT0_PKliiiiiiiPKf.numbered_sgpr, 34
	.set _ZN4vllm27concat_and_cache_mla_kernelI14__hip_bfloat16S1_LNS_18Fp8KVCacheDataTypeE0EEEvPKT_S5_PT0_PKliiiiiiiPKf.num_named_barrier, 0
	.set _ZN4vllm27concat_and_cache_mla_kernelI14__hip_bfloat16S1_LNS_18Fp8KVCacheDataTypeE0EEEvPKT_S5_PT0_PKliiiiiiiPKf.private_seg_size, 0
	.set _ZN4vllm27concat_and_cache_mla_kernelI14__hip_bfloat16S1_LNS_18Fp8KVCacheDataTypeE0EEEvPKT_S5_PT0_PKliiiiiiiPKf.uses_vcc, 1
	.set _ZN4vllm27concat_and_cache_mla_kernelI14__hip_bfloat16S1_LNS_18Fp8KVCacheDataTypeE0EEEvPKT_S5_PT0_PKliiiiiiiPKf.uses_flat_scratch, 0
	.set _ZN4vllm27concat_and_cache_mla_kernelI14__hip_bfloat16S1_LNS_18Fp8KVCacheDataTypeE0EEEvPKT_S5_PT0_PKliiiiiiiPKf.has_dyn_sized_stack, 0
	.set _ZN4vllm27concat_and_cache_mla_kernelI14__hip_bfloat16S1_LNS_18Fp8KVCacheDataTypeE0EEEvPKT_S5_PT0_PKliiiiiiiPKf.has_recursion, 0
	.set _ZN4vllm27concat_and_cache_mla_kernelI14__hip_bfloat16S1_LNS_18Fp8KVCacheDataTypeE0EEEvPKT_S5_PT0_PKliiiiiiiPKf.has_indirect_call, 0
	.section	.AMDGPU.csdata,"",@progbits
; Kernel info:
; codeLenInByte = 1248
; TotalNumSgprs: 38
; NumVgprs: 9
; ScratchSize: 0
; MemoryBound: 0
; FloatMode: 240
; IeeeMode: 1
; LDSByteSize: 0 bytes/workgroup (compile time only)
; SGPRBlocks: 4
; VGPRBlocks: 2
; NumSGPRsForWavesPerEU: 38
; NumVGPRsForWavesPerEU: 9
; Occupancy: 10
; WaveLimiterHint : 1
; COMPUTE_PGM_RSRC2:SCRATCH_EN: 0
; COMPUTE_PGM_RSRC2:USER_SGPR: 6
; COMPUTE_PGM_RSRC2:TRAP_HANDLER: 0
; COMPUTE_PGM_RSRC2:TGID_X_EN: 1
; COMPUTE_PGM_RSRC2:TGID_Y_EN: 0
; COMPUTE_PGM_RSRC2:TGID_Z_EN: 0
; COMPUTE_PGM_RSRC2:TIDIG_COMP_CNT: 0
	.section	.text._ZN4vllm27concat_and_cache_mla_kernelIfhLNS_18Fp8KVCacheDataTypeE1EEEvPKT_S4_PT0_PKliiiiiiiPKf,"axG",@progbits,_ZN4vllm27concat_and_cache_mla_kernelIfhLNS_18Fp8KVCacheDataTypeE1EEEvPKT_S4_PT0_PKliiiiiiiPKf,comdat
	.protected	_ZN4vllm27concat_and_cache_mla_kernelIfhLNS_18Fp8KVCacheDataTypeE1EEEvPKT_S4_PT0_PKliiiiiiiPKf ; -- Begin function _ZN4vllm27concat_and_cache_mla_kernelIfhLNS_18Fp8KVCacheDataTypeE1EEEvPKT_S4_PT0_PKliiiiiiiPKf
	.globl	_ZN4vllm27concat_and_cache_mla_kernelIfhLNS_18Fp8KVCacheDataTypeE1EEEvPKT_S4_PT0_PKliiiiiiiPKf
	.p2align	8
	.type	_ZN4vllm27concat_and_cache_mla_kernelIfhLNS_18Fp8KVCacheDataTypeE1EEEvPKT_S4_PT0_PKliiiiiiiPKf,@function
_ZN4vllm27concat_and_cache_mla_kernelIfhLNS_18Fp8KVCacheDataTypeE1EEEvPKT_S4_PT0_PKliiiiiiiPKf: ; @_ZN4vllm27concat_and_cache_mla_kernelIfhLNS_18Fp8KVCacheDataTypeE1EEEvPKT_S4_PT0_PKliiiiiiiPKf
; %bb.0:
	s_load_dwordx2 s[0:1], s[4:5], 0x18
	s_mov_b32 s7, 0
	s_lshl_b64 s[2:3], s[6:7], 3
	s_waitcnt lgkmcnt(0)
	s_add_u32 s0, s0, s2
	s_addc_u32 s1, s1, s3
	s_load_dwordx2 s[0:1], s[0:1], 0x0
	s_waitcnt lgkmcnt(0)
	v_cmp_lt_i64_e64 s[2:3], s[0:1], 0
	s_and_b64 vcc, exec, s[2:3]
	s_cbranch_vccnz .LBB23_50
; %bb.1:
	s_load_dwordx8 s[8:15], s[4:5], 0x20
	s_waitcnt lgkmcnt(0)
	s_ashr_i32 s15, s14, 31
	s_or_b64 s[2:3], s[0:1], s[14:15]
	s_mov_b32 s2, s7
	s_cmp_lg_u64 s[2:3], 0
	s_cbranch_scc0 .LBB23_51
; %bb.2:
	s_ashr_i32 s2, s15, 31
	s_add_u32 s16, s14, s2
	s_mov_b32 s3, s2
	s_addc_u32 s17, s15, s2
	s_xor_b64 s[16:17], s[16:17], s[2:3]
	v_cvt_f32_u32_e32 v1, s16
	v_cvt_f32_u32_e32 v2, s17
	s_sub_u32 s7, 0, s16
	s_subb_u32 s22, 0, s17
	v_madmk_f32 v1, v2, 0x4f800000, v1
	v_rcp_f32_e32 v1, v1
	v_mul_f32_e32 v1, 0x5f7ffffc, v1
	v_mul_f32_e32 v2, 0x2f800000, v1
	v_trunc_f32_e32 v2, v2
	v_madmk_f32 v1, v2, 0xcf800000, v1
	v_cvt_u32_f32_e32 v2, v2
	v_cvt_u32_f32_e32 v1, v1
	v_readfirstlane_b32 s23, v2
	v_readfirstlane_b32 s20, v1
	s_mul_i32 s21, s7, s23
	s_mul_hi_u32 s25, s7, s20
	s_mul_i32 s24, s22, s20
	s_add_i32 s21, s25, s21
	s_add_i32 s21, s21, s24
	s_mul_i32 s26, s7, s20
	s_mul_i32 s25, s20, s21
	s_mul_hi_u32 s27, s20, s26
	s_mul_hi_u32 s24, s20, s21
	s_add_u32 s25, s27, s25
	s_addc_u32 s24, 0, s24
	s_mul_hi_u32 s28, s23, s26
	s_mul_i32 s26, s23, s26
	s_add_u32 s25, s25, s26
	s_mul_hi_u32 s27, s23, s21
	s_addc_u32 s24, s24, s28
	s_addc_u32 s25, s27, 0
	s_mul_i32 s21, s23, s21
	s_add_u32 s21, s24, s21
	s_addc_u32 s24, 0, s25
	s_add_u32 s25, s20, s21
	s_cselect_b64 s[20:21], -1, 0
	s_cmp_lg_u64 s[20:21], 0
	s_addc_u32 s23, s23, s24
	s_mul_i32 s20, s7, s23
	s_mul_hi_u32 s21, s7, s25
	s_add_i32 s20, s21, s20
	s_mul_i32 s22, s22, s25
	s_add_i32 s20, s20, s22
	s_mul_i32 s7, s7, s25
	s_mul_hi_u32 s22, s23, s7
	s_mul_i32 s24, s23, s7
	s_mul_i32 s27, s25, s20
	s_mul_hi_u32 s7, s25, s7
	s_mul_hi_u32 s26, s25, s20
	s_add_u32 s7, s7, s27
	s_addc_u32 s26, 0, s26
	s_add_u32 s7, s7, s24
	s_mul_hi_u32 s21, s23, s20
	s_addc_u32 s7, s26, s22
	s_addc_u32 s21, s21, 0
	s_mul_i32 s20, s23, s20
	s_add_u32 s7, s7, s20
	s_addc_u32 s22, 0, s21
	s_add_u32 s7, s25, s7
	s_cselect_b64 s[20:21], -1, 0
	s_cmp_lg_u64 s[20:21], 0
	s_addc_u32 s24, s23, s22
	s_ashr_i32 s20, s1, 31
	s_add_u32 s22, s0, s20
	s_mov_b32 s21, s20
	s_addc_u32 s23, s1, s20
	s_xor_b64 s[22:23], s[22:23], s[20:21]
	s_mul_i32 s26, s22, s24
	s_mul_hi_u32 s27, s22, s7
	s_mul_hi_u32 s25, s22, s24
	s_add_u32 s26, s27, s26
	s_addc_u32 s25, 0, s25
	s_mul_hi_u32 s28, s23, s7
	s_mul_i32 s7, s23, s7
	s_add_u32 s7, s26, s7
	s_mul_hi_u32 s27, s23, s24
	s_addc_u32 s7, s25, s28
	s_addc_u32 s25, s27, 0
	s_mul_i32 s24, s23, s24
	s_add_u32 s7, s7, s24
	s_addc_u32 s28, 0, s25
	s_mul_i32 s24, s16, s28
	s_mul_hi_u32 s25, s16, s7
	s_add_i32 s24, s25, s24
	s_mul_i32 s25, s17, s7
	s_add_i32 s29, s24, s25
	s_sub_i32 s26, s23, s29
	s_mul_i32 s24, s16, s7
	s_sub_u32 s22, s22, s24
	s_cselect_b64 s[24:25], -1, 0
	s_cmp_lg_u64 s[24:25], 0
	s_subb_u32 s30, s26, s17
	s_sub_u32 s31, s22, s16
	s_cselect_b64 s[26:27], -1, 0
	s_cmp_lg_u64 s[26:27], 0
	s_subb_u32 s26, s30, 0
	s_cmp_ge_u32 s26, s17
	s_cselect_b32 s27, -1, 0
	s_cmp_ge_u32 s31, s16
	s_cselect_b32 s30, -1, 0
	s_cmp_eq_u32 s26, s17
	s_cselect_b32 s26, s30, s27
	s_add_u32 s27, s7, 1
	s_addc_u32 s30, s28, 0
	s_add_u32 s31, s7, 2
	s_addc_u32 s33, s28, 0
	s_cmp_lg_u32 s26, 0
	s_cselect_b32 s26, s31, s27
	s_cselect_b32 s27, s33, s30
	s_cmp_lg_u64 s[24:25], 0
	s_subb_u32 s23, s23, s29
	s_cmp_ge_u32 s23, s17
	s_cselect_b32 s24, -1, 0
	s_cmp_ge_u32 s22, s16
	s_cselect_b32 s16, -1, 0
	s_cmp_eq_u32 s23, s17
	s_cselect_b32 s16, s16, s24
	s_cmp_lg_u32 s16, 0
	s_cselect_b32 s17, s27, s28
	s_cselect_b32 s16, s26, s7
	s_xor_b64 s[2:3], s[20:21], s[2:3]
	s_xor_b64 s[16:17], s[16:17], s[2:3]
	s_sub_u32 s16, s16, s2
	s_subb_u32 s17, s17, s3
	s_load_dwordx2 s[2:3], s[4:5], 0x10
	s_cbranch_execnz .LBB23_4
.LBB23_3:
	v_cvt_f32_u32_e32 v1, s14
	s_sub_i32 s7, 0, s14
	s_mov_b32 s17, 0
	v_rcp_iflag_f32_e32 v1, v1
	v_mul_f32_e32 v1, 0x4f7ffffe, v1
	v_cvt_u32_f32_e32 v1, v1
	v_readfirstlane_b32 s16, v1
	s_mul_i32 s7, s7, s16
	s_mul_hi_u32 s7, s16, s7
	s_add_i32 s16, s16, s7
	s_mul_hi_u32 s7, s0, s16
	s_mul_i32 s18, s7, s14
	s_sub_i32 s18, s0, s18
	s_add_i32 s16, s7, 1
	s_sub_i32 s19, s18, s14
	s_cmp_ge_u32 s18, s14
	s_cselect_b32 s7, s16, s7
	s_cselect_b32 s18, s19, s18
	s_add_i32 s16, s7, 1
	s_cmp_ge_u32 s18, s14
	s_cselect_b32 s16, s16, s7
.LBB23_4:
	s_mul_i32 s7, s16, s15
	s_mul_hi_u32 s15, s16, s14
	s_load_dwordx2 s[18:19], s[4:5], 0x8
	s_load_dwordx2 s[20:21], s[4:5], 0x40
	s_add_i32 s7, s15, s7
	s_mul_i32 s15, s17, s14
	s_add_i32 s7, s7, s15
	s_mul_i32 s14, s16, s14
	s_sub_u32 s33, s0, s14
	s_subb_u32 s41, s1, s7
	v_cmp_gt_i32_e32 vcc, s12, v0
	s_mul_hi_u32 s42, s16, s8
	s_mul_i32 s43, s17, s8
	s_mul_i32 s17, s16, s8
	s_mul_hi_u32 s40, s33, s9
	s_mul_i32 s41, s41, s9
	s_mul_i32 s7, s33, s9
	s_and_saveexec_b64 s[14:15], vcc
	s_cbranch_execz .LBB23_27
; %bb.5:
	s_ashr_i32 s22, s10, 31
	s_mul_hi_u32 s23, s10, s6
	s_mul_i32 s22, s22, s6
	s_add_i32 s23, s23, s22
	s_mul_i32 s22, s10, s6
	s_ashr_i32 s10, s8, 31
	s_mul_i32 s10, s16, s10
	s_load_dwordx2 s[0:1], s[4:5], 0x0
	s_load_dword s26, s[4:5], 0x54
	s_add_i32 s10, s42, s10
	s_add_i32 s24, s10, s43
	s_ashr_i32 s10, s9, 31
	s_mul_i32 s10, s33, s10
	s_add_i32 s10, s40, s10
	s_add_i32 s25, s10, s41
	s_lshl_b64 s[22:23], s[22:23], 2
	s_waitcnt lgkmcnt(0)
	s_add_u32 s10, s0, s22
	s_addc_u32 s0, s1, s23
	s_load_dword s44, s[20:21], 0x0
	s_add_u32 s1, s2, s17
	s_addc_u32 s22, s3, s24
	s_add_u32 s45, s1, s7
	s_addc_u32 s46, s22, s25
	s_and_b32 s47, s26, 0xffff
	s_mov_b64 s[22:23], 0
	v_mov_b32_e32 v8, s0
	v_mov_b32_e32 v2, 0
	s_mov_b64 s[24:25], 0x7f800000
	s_movk_i32 s48, 0x80
	s_mov_b64 s[26:27], 0x43e00001
	s_movk_i32 s49, 0x7a
	;; [unrolled: 2-line block ×3, first 2 shown]
	v_mov_b32_e32 v9, 0x78
	v_mov_b32_e32 v10, 0xffffff82
	;; [unrolled: 1-line block ×3, first 2 shown]
	s_branch .LBB23_7
.LBB23_6:                               ;   in Loop: Header=BB23_7 Depth=1
	s_or_b64 exec, exec, s[0:1]
	v_mov_b32_e32 v6, s46
	v_add_co_u32_e32 v5, vcc, s45, v3
	v_addc_co_u32_e32 v6, vcc, v6, v4, vcc
	v_add_u32_e32 v3, s47, v3
	v_cmp_le_i32_e32 vcc, s12, v3
	s_or_b64 s[22:23], vcc, s[22:23]
	global_store_byte v[5:6], v1, off
	s_andn2_b64 exec, exec, s[22:23]
	s_cbranch_execz .LBB23_27
.LBB23_7:                               ; =>This Inner Loop Header: Depth=1
	v_ashrrev_i32_e32 v4, 31, v3
	v_lshlrev_b64 v[5:6], 2, v[3:4]
	v_add_co_u32_e32 v5, vcc, s10, v5
	v_addc_co_u32_e32 v6, vcc, v8, v6, vcc
	global_load_dword v1, v[5:6], off
	s_waitcnt vmcnt(0) lgkmcnt(0)
	v_div_scale_f32 v5, s[0:1], s44, s44, v1
	v_div_scale_f32 v6, vcc, v1, s44, v1
	v_rcp_f32_e32 v7, v5
	v_fma_f32 v11, -v5, v7, 1.0
	v_fmac_f32_e32 v7, v11, v7
	v_mul_f32_e32 v11, v6, v7
	v_fma_f32 v12, -v5, v11, v6
	v_fmac_f32_e32 v11, v12, v7
	v_fma_f32 v5, -v5, v11, v6
	v_div_fmas_f32 v5, v5, v7, v11
	v_div_fixup_f32 v5, v5, s44, v1
	v_and_b32_e32 v1, 0x7f800000, v5
	v_cmp_ne_u64_e32 vcc, s[24:25], v[1:2]
                                        ; implicit-def: $vgpr1
	s_and_saveexec_b64 s[0:1], vcc
	s_xor_b64 s[30:31], exec, s[0:1]
	s_cbranch_execz .LBB23_25
; %bb.8:                                ;   in Loop: Header=BB23_7 Depth=1
	v_and_b32_e32 v1, 0x7fffffff, v5
	v_cmp_gt_u64_e32 vcc, s[26:27], v[1:2]
	v_and_b32_sdwa v11, v5, s48 dst_sel:DWORD dst_unused:UNUSED_PAD src0_sel:BYTE_3 src1_sel:DWORD
                                        ; implicit-def: $vgpr1
	s_and_saveexec_b64 s[0:1], vcc
	s_xor_b64 s[34:35], exec, s[0:1]
	s_cbranch_execz .LBB23_22
; %bb.9:                                ;   in Loop: Header=BB23_7 Depth=1
	v_cmp_ne_u32_e32 vcc, 0, v5
	v_mov_b32_e32 v1, 0
	s_and_saveexec_b64 s[36:37], vcc
	s_cbranch_execz .LBB23_21
; %bb.10:                               ;   in Loop: Header=BB23_7 Depth=1
	v_bfe_u32 v12, v5, 23, 8
	v_and_b32_e32 v1, 0x7fffff, v5
	v_sub_u32_e32 v5, 0x79, v12
	v_cmp_gt_u32_e32 vcc, s49, v12
	v_cndmask_b32_e32 v5, 0, v5, vcc
	v_cmp_eq_u32_e32 vcc, 0, v12
	v_cndmask_b32_e32 v13, v5, v9, vcc
	v_add_u32_e32 v5, 20, v13
	v_or_b32_e32 v7, 0x800000, v1
	v_lshlrev_b64 v[5:6], v5, -1
	v_cndmask_b32_e32 v1, v7, v1, vcc
	v_bfi_b32 v14, v5, 0, v1
	v_add_u32_e32 v5, 19, v13
	v_bfi_b32 v15, v6, 0, 0
	v_lshlrev_b64 v[16:17], v5, 1
	v_lshrrev_b64 v[5:6], v13, v[1:2]
	v_cmp_eq_u64_e64 s[0:1], v[14:15], v[16:17]
	v_mov_b32_e32 v7, v6
	v_mov_b32_e32 v6, v5
	s_and_saveexec_b64 s[38:39], s[0:1]
; %bb.11:                               ;   in Loop: Header=BB23_7 Depth=1
	v_bfe_u32 v1, v5, 20, 1
	v_add_co_u32_e64 v1, s[0:1], v5, v1
	v_add_co_u32_e64 v6, s[0:1], -1, v1
; %bb.12:                               ;   in Loop: Header=BB23_7 Depth=1
	s_or_b64 exec, exec, s[38:39]
	v_add_u32_e32 v1, 0xffffff81, v12
	v_cndmask_b32_e32 v1, v1, v10, vcc
	v_lshrrev_b32_e32 v7, 23, v5
	v_add3_u32 v13, v13, v1, v7
	v_add_u32_e32 v12, 6, v13
	v_and_b32_e32 v1, 0xfffff, v6
	v_add_u32_e32 v1, v1, v5
	v_cmp_ne_u32_e32 vcc, 0, v12
                                        ; implicit-def: $vgpr5_vgpr6
                                        ; implicit-def: $vgpr7
	s_and_saveexec_b64 s[0:1], vcc
	s_xor_b64 s[0:1], exec, s[0:1]
; %bb.13:                               ;   in Loop: Header=BB23_7 Depth=1
	v_cmp_lt_u64_e32 vcc, s[28:29], v[1:2]
	v_add_u32_e32 v5, 7, v13
	v_cndmask_b32_e32 v7, v12, v5, vcc
	v_cndmask_b32_e64 v5, 0, 1, vcc
	v_lshrrev_b64 v[5:6], v5, v[1:2]
; %bb.14:                               ;   in Loop: Header=BB23_7 Depth=1
	s_andn2_saveexec_b64 s[0:1], s[0:1]
; %bb.15:                               ;   in Loop: Header=BB23_7 Depth=1
	v_mov_b32_e32 v6, v2
	v_bfe_u32 v7, v1, 23, 1
	v_mov_b32_e32 v5, v1
; %bb.16:                               ;   in Loop: Header=BB23_7 Depth=1
	s_or_b64 exec, exec, s[0:1]
	v_lshrrev_b64 v[5:6], 20, v[5:6]
	v_cmp_gt_i32_e32 vcc, 16, v7
	v_cndmask_b32_e32 v6, 0, v6, vcc
	v_cndmask_b32_e32 v5, 7, v5, vcc
	v_cmp_ne_u64_e32 vcc, 0, v[5:6]
	v_cmp_ne_u32_e64 s[0:1], 0, v7
	s_or_b64 s[0:1], s[0:1], vcc
                                        ; implicit-def: $vgpr1
	s_and_saveexec_b64 s[38:39], s[0:1]
	s_xor_b64 s[0:1], exec, s[38:39]
; %bb.17:                               ;   in Loop: Header=BB23_7 Depth=1
	v_min_i32_e32 v1, 15, v7
	v_lshl_or_b32 v1, v1, 3, v11
	v_and_or_b32 v1, v5, 7, v1
                                        ; implicit-def: $vgpr11
; %bb.18:                               ;   in Loop: Header=BB23_7 Depth=1
	s_andn2_saveexec_b64 s[0:1], s[0:1]
; %bb.19:                               ;   in Loop: Header=BB23_7 Depth=1
	v_mov_b32_e32 v1, v11
; %bb.20:                               ;   in Loop: Header=BB23_7 Depth=1
	s_or_b64 exec, exec, s[0:1]
.LBB23_21:                              ;   in Loop: Header=BB23_7 Depth=1
	s_or_b64 exec, exec, s[36:37]
                                        ; implicit-def: $vgpr11
.LBB23_22:                              ;   in Loop: Header=BB23_7 Depth=1
	s_andn2_saveexec_b64 s[0:1], s[34:35]
; %bb.23:                               ;   in Loop: Header=BB23_7 Depth=1
	v_or_b32_e32 v1, 0x7e, v11
; %bb.24:                               ;   in Loop: Header=BB23_7 Depth=1
	s_or_b64 exec, exec, s[0:1]
                                        ; implicit-def: $vgpr5
.LBB23_25:                              ;   in Loop: Header=BB23_7 Depth=1
	s_andn2_saveexec_b64 s[0:1], s[30:31]
	s_cbranch_execz .LBB23_6
; %bb.26:                               ;   in Loop: Header=BB23_7 Depth=1
	v_or_b32_sdwa v1, v5, s50 dst_sel:DWORD dst_unused:UNUSED_PAD src0_sel:BYTE_3 src1_sel:DWORD
	s_branch .LBB23_6
.LBB23_27:
	s_or_b64 exec, exec, s[14:15]
	v_cmp_gt_i32_e32 vcc, s13, v0
	s_and_saveexec_b64 s[0:1], vcc
	s_cbranch_execz .LBB23_50
; %bb.28:
	s_ashr_i32 s0, s11, 31
	s_mul_hi_u32 s1, s11, s6
	s_mul_i32 s0, s0, s6
	s_add_i32 s1, s1, s0
	s_mul_i32 s0, s11, s6
	s_ashr_i32 s6, s8, 31
	s_ashr_i32 s8, s9, 31
	s_mul_i32 s6, s16, s6
	s_mul_i32 s33, s33, s8
	s_add_i32 s6, s42, s6
	s_add_i32 s8, s40, s33
	;; [unrolled: 1-line block ×4, first 2 shown]
	s_ashr_i32 s9, s12, 31
	s_lshl_b64 s[0:1], s[0:1], 2
	s_waitcnt lgkmcnt(0)
	s_add_u32 s22, s18, s0
	s_addc_u32 s0, s19, s1
	s_add_u32 s1, s2, s17
	s_addc_u32 s2, s3, s6
	s_load_dword s3, s[4:5], 0x54
	s_add_u32 s1, s1, s7
	s_load_dword s20, s[20:21], 0x0
	s_addc_u32 s2, s2, s8
	s_add_u32 s12, s1, s12
	s_addc_u32 s21, s2, s9
	s_waitcnt lgkmcnt(0)
	s_and_b32 s23, s3, 0xffff
	s_mov_b64 s[2:3], 0
	v_mov_b32_e32 v7, s0
	v_mov_b32_e32 v3, 0
	s_mov_b64 s[4:5], 0x7f800000
	s_movk_i32 s24, 0x80
	s_mov_b64 s[6:7], 0x43e00001
	s_movk_i32 s25, 0x7a
	;; [unrolled: 2-line block ×3, first 2 shown]
	v_mov_b32_e32 v8, 0x78
	v_mov_b32_e32 v9, 0xffffff82
	s_branch .LBB23_30
.LBB23_29:                              ;   in Loop: Header=BB23_30 Depth=1
	s_or_b64 exec, exec, s[0:1]
	v_mov_b32_e32 v5, s21
	v_add_co_u32_e32 v4, vcc, s12, v0
	v_addc_co_u32_e32 v5, vcc, v5, v1, vcc
	v_add_u32_e32 v0, s23, v0
	v_cmp_le_i32_e32 vcc, s13, v0
	s_or_b64 s[2:3], vcc, s[2:3]
	global_store_byte v[4:5], v2, off
	s_andn2_b64 exec, exec, s[2:3]
	s_cbranch_execz .LBB23_50
.LBB23_30:                              ; =>This Inner Loop Header: Depth=1
	v_ashrrev_i32_e32 v1, 31, v0
	v_lshlrev_b64 v[4:5], 2, v[0:1]
	v_add_co_u32_e32 v4, vcc, s22, v4
	v_addc_co_u32_e32 v5, vcc, v7, v5, vcc
	global_load_dword v2, v[4:5], off
	s_waitcnt vmcnt(0)
	v_div_scale_f32 v4, s[0:1], s20, s20, v2
	v_div_scale_f32 v5, vcc, v2, s20, v2
	v_rcp_f32_e32 v6, v4
	v_fma_f32 v10, -v4, v6, 1.0
	v_fmac_f32_e32 v6, v10, v6
	v_mul_f32_e32 v10, v5, v6
	v_fma_f32 v11, -v4, v10, v5
	v_fmac_f32_e32 v10, v11, v6
	v_fma_f32 v4, -v4, v10, v5
	v_div_fmas_f32 v4, v4, v6, v10
	v_div_fixup_f32 v4, v4, s20, v2
	v_and_b32_e32 v2, 0x7f800000, v4
	v_cmp_ne_u64_e32 vcc, s[4:5], v[2:3]
                                        ; implicit-def: $vgpr2
	s_and_saveexec_b64 s[0:1], vcc
	s_xor_b64 s[10:11], exec, s[0:1]
	s_cbranch_execz .LBB23_48
; %bb.31:                               ;   in Loop: Header=BB23_30 Depth=1
	v_and_b32_e32 v2, 0x7fffffff, v4
	v_cmp_gt_u64_e32 vcc, s[6:7], v[2:3]
	v_and_b32_sdwa v10, v4, s24 dst_sel:DWORD dst_unused:UNUSED_PAD src0_sel:BYTE_3 src1_sel:DWORD
                                        ; implicit-def: $vgpr2
	s_and_saveexec_b64 s[0:1], vcc
	s_xor_b64 s[14:15], exec, s[0:1]
	s_cbranch_execz .LBB23_45
; %bb.32:                               ;   in Loop: Header=BB23_30 Depth=1
	v_cmp_ne_u32_e32 vcc, 0, v4
	v_mov_b32_e32 v2, 0
	s_and_saveexec_b64 s[16:17], vcc
	s_cbranch_execz .LBB23_44
; %bb.33:                               ;   in Loop: Header=BB23_30 Depth=1
	v_bfe_u32 v11, v4, 23, 8
	v_and_b32_e32 v2, 0x7fffff, v4
	v_sub_u32_e32 v4, 0x79, v11
	v_cmp_gt_u32_e32 vcc, s25, v11
	v_cndmask_b32_e32 v4, 0, v4, vcc
	v_cmp_eq_u32_e32 vcc, 0, v11
	v_cndmask_b32_e32 v12, v4, v8, vcc
	v_add_u32_e32 v4, 20, v12
	v_or_b32_e32 v6, 0x800000, v2
	v_lshlrev_b64 v[4:5], v4, -1
	v_cndmask_b32_e32 v2, v6, v2, vcc
	v_bfi_b32 v13, v4, 0, v2
	v_add_u32_e32 v4, 19, v12
	v_bfi_b32 v14, v5, 0, 0
	v_lshlrev_b64 v[15:16], v4, 1
	v_lshrrev_b64 v[4:5], v12, v[2:3]
	v_cmp_eq_u64_e64 s[0:1], v[13:14], v[15:16]
	v_mov_b32_e32 v6, v5
	v_mov_b32_e32 v5, v4
	s_and_saveexec_b64 s[18:19], s[0:1]
; %bb.34:                               ;   in Loop: Header=BB23_30 Depth=1
	v_bfe_u32 v2, v4, 20, 1
	v_add_co_u32_e64 v2, s[0:1], v4, v2
	v_add_co_u32_e64 v5, s[0:1], -1, v2
; %bb.35:                               ;   in Loop: Header=BB23_30 Depth=1
	s_or_b64 exec, exec, s[18:19]
	v_add_u32_e32 v2, 0xffffff81, v11
	v_cndmask_b32_e32 v2, v2, v9, vcc
	v_lshrrev_b32_e32 v6, 23, v4
	v_add3_u32 v12, v12, v2, v6
	v_add_u32_e32 v11, 6, v12
	v_and_b32_e32 v2, 0xfffff, v5
	v_add_u32_e32 v2, v2, v4
	v_cmp_ne_u32_e32 vcc, 0, v11
                                        ; implicit-def: $vgpr4_vgpr5
                                        ; implicit-def: $vgpr6
	s_and_saveexec_b64 s[0:1], vcc
	s_xor_b64 s[0:1], exec, s[0:1]
; %bb.36:                               ;   in Loop: Header=BB23_30 Depth=1
	v_cmp_lt_u64_e32 vcc, s[8:9], v[2:3]
	v_add_u32_e32 v4, 7, v12
	v_cndmask_b32_e32 v6, v11, v4, vcc
	v_cndmask_b32_e64 v4, 0, 1, vcc
	v_lshrrev_b64 v[4:5], v4, v[2:3]
; %bb.37:                               ;   in Loop: Header=BB23_30 Depth=1
	s_andn2_saveexec_b64 s[0:1], s[0:1]
; %bb.38:                               ;   in Loop: Header=BB23_30 Depth=1
	v_mov_b32_e32 v5, v3
	v_bfe_u32 v6, v2, 23, 1
	v_mov_b32_e32 v4, v2
; %bb.39:                               ;   in Loop: Header=BB23_30 Depth=1
	s_or_b64 exec, exec, s[0:1]
	v_lshrrev_b64 v[4:5], 20, v[4:5]
	v_cmp_gt_i32_e32 vcc, 16, v6
	v_cndmask_b32_e32 v5, 0, v5, vcc
	v_cndmask_b32_e32 v4, 7, v4, vcc
	v_cmp_ne_u64_e32 vcc, 0, v[4:5]
	v_cmp_ne_u32_e64 s[0:1], 0, v6
	s_or_b64 s[0:1], s[0:1], vcc
                                        ; implicit-def: $vgpr2
	s_and_saveexec_b64 s[18:19], s[0:1]
	s_xor_b64 s[0:1], exec, s[18:19]
; %bb.40:                               ;   in Loop: Header=BB23_30 Depth=1
	v_min_i32_e32 v2, 15, v6
	v_lshl_or_b32 v2, v2, 3, v10
	v_and_or_b32 v2, v4, 7, v2
                                        ; implicit-def: $vgpr10
; %bb.41:                               ;   in Loop: Header=BB23_30 Depth=1
	s_andn2_saveexec_b64 s[0:1], s[0:1]
; %bb.42:                               ;   in Loop: Header=BB23_30 Depth=1
	v_mov_b32_e32 v2, v10
; %bb.43:                               ;   in Loop: Header=BB23_30 Depth=1
	s_or_b64 exec, exec, s[0:1]
.LBB23_44:                              ;   in Loop: Header=BB23_30 Depth=1
	s_or_b64 exec, exec, s[16:17]
                                        ; implicit-def: $vgpr10
.LBB23_45:                              ;   in Loop: Header=BB23_30 Depth=1
	s_andn2_saveexec_b64 s[0:1], s[14:15]
; %bb.46:                               ;   in Loop: Header=BB23_30 Depth=1
	v_or_b32_e32 v2, 0x7e, v10
; %bb.47:                               ;   in Loop: Header=BB23_30 Depth=1
	s_or_b64 exec, exec, s[0:1]
                                        ; implicit-def: $vgpr4
.LBB23_48:                              ;   in Loop: Header=BB23_30 Depth=1
	s_andn2_saveexec_b64 s[0:1], s[10:11]
	s_cbranch_execz .LBB23_29
; %bb.49:                               ;   in Loop: Header=BB23_30 Depth=1
	v_or_b32_sdwa v2, v4, s26 dst_sel:DWORD dst_unused:UNUSED_PAD src0_sel:BYTE_3 src1_sel:DWORD
	s_branch .LBB23_29
.LBB23_50:
	s_endpgm
.LBB23_51:
                                        ; implicit-def: $sgpr16_sgpr17
	s_load_dwordx2 s[2:3], s[4:5], 0x10
	s_branch .LBB23_3
	.section	.rodata,"a",@progbits
	.p2align	6, 0x0
	.amdhsa_kernel _ZN4vllm27concat_and_cache_mla_kernelIfhLNS_18Fp8KVCacheDataTypeE1EEEvPKT_S4_PT0_PKliiiiiiiPKf
		.amdhsa_group_segment_fixed_size 0
		.amdhsa_private_segment_fixed_size 0
		.amdhsa_kernarg_size 328
		.amdhsa_user_sgpr_count 6
		.amdhsa_user_sgpr_private_segment_buffer 1
		.amdhsa_user_sgpr_dispatch_ptr 0
		.amdhsa_user_sgpr_queue_ptr 0
		.amdhsa_user_sgpr_kernarg_segment_ptr 1
		.amdhsa_user_sgpr_dispatch_id 0
		.amdhsa_user_sgpr_flat_scratch_init 0
		.amdhsa_user_sgpr_private_segment_size 0
		.amdhsa_uses_dynamic_stack 0
		.amdhsa_system_sgpr_private_segment_wavefront_offset 0
		.amdhsa_system_sgpr_workgroup_id_x 1
		.amdhsa_system_sgpr_workgroup_id_y 0
		.amdhsa_system_sgpr_workgroup_id_z 0
		.amdhsa_system_sgpr_workgroup_info 0
		.amdhsa_system_vgpr_workitem_id 0
		.amdhsa_next_free_vgpr 18
		.amdhsa_next_free_sgpr 51
		.amdhsa_reserve_vcc 1
		.amdhsa_reserve_flat_scratch 0
		.amdhsa_float_round_mode_32 0
		.amdhsa_float_round_mode_16_64 0
		.amdhsa_float_denorm_mode_32 3
		.amdhsa_float_denorm_mode_16_64 3
		.amdhsa_dx10_clamp 1
		.amdhsa_ieee_mode 1
		.amdhsa_fp16_overflow 0
		.amdhsa_exception_fp_ieee_invalid_op 0
		.amdhsa_exception_fp_denorm_src 0
		.amdhsa_exception_fp_ieee_div_zero 0
		.amdhsa_exception_fp_ieee_overflow 0
		.amdhsa_exception_fp_ieee_underflow 0
		.amdhsa_exception_fp_ieee_inexact 0
		.amdhsa_exception_int_div_zero 0
	.end_amdhsa_kernel
	.section	.text._ZN4vllm27concat_and_cache_mla_kernelIfhLNS_18Fp8KVCacheDataTypeE1EEEvPKT_S4_PT0_PKliiiiiiiPKf,"axG",@progbits,_ZN4vllm27concat_and_cache_mla_kernelIfhLNS_18Fp8KVCacheDataTypeE1EEEvPKT_S4_PT0_PKliiiiiiiPKf,comdat
.Lfunc_end23:
	.size	_ZN4vllm27concat_and_cache_mla_kernelIfhLNS_18Fp8KVCacheDataTypeE1EEEvPKT_S4_PT0_PKliiiiiiiPKf, .Lfunc_end23-_ZN4vllm27concat_and_cache_mla_kernelIfhLNS_18Fp8KVCacheDataTypeE1EEEvPKT_S4_PT0_PKliiiiiiiPKf
                                        ; -- End function
	.set _ZN4vllm27concat_and_cache_mla_kernelIfhLNS_18Fp8KVCacheDataTypeE1EEEvPKT_S4_PT0_PKliiiiiiiPKf.num_vgpr, 18
	.set _ZN4vllm27concat_and_cache_mla_kernelIfhLNS_18Fp8KVCacheDataTypeE1EEEvPKT_S4_PT0_PKliiiiiiiPKf.num_agpr, 0
	.set _ZN4vllm27concat_and_cache_mla_kernelIfhLNS_18Fp8KVCacheDataTypeE1EEEvPKT_S4_PT0_PKliiiiiiiPKf.numbered_sgpr, 51
	.set _ZN4vllm27concat_and_cache_mla_kernelIfhLNS_18Fp8KVCacheDataTypeE1EEEvPKT_S4_PT0_PKliiiiiiiPKf.num_named_barrier, 0
	.set _ZN4vllm27concat_and_cache_mla_kernelIfhLNS_18Fp8KVCacheDataTypeE1EEEvPKT_S4_PT0_PKliiiiiiiPKf.private_seg_size, 0
	.set _ZN4vllm27concat_and_cache_mla_kernelIfhLNS_18Fp8KVCacheDataTypeE1EEEvPKT_S4_PT0_PKliiiiiiiPKf.uses_vcc, 1
	.set _ZN4vllm27concat_and_cache_mla_kernelIfhLNS_18Fp8KVCacheDataTypeE1EEEvPKT_S4_PT0_PKliiiiiiiPKf.uses_flat_scratch, 0
	.set _ZN4vllm27concat_and_cache_mla_kernelIfhLNS_18Fp8KVCacheDataTypeE1EEEvPKT_S4_PT0_PKliiiiiiiPKf.has_dyn_sized_stack, 0
	.set _ZN4vllm27concat_and_cache_mla_kernelIfhLNS_18Fp8KVCacheDataTypeE1EEEvPKT_S4_PT0_PKliiiiiiiPKf.has_recursion, 0
	.set _ZN4vllm27concat_and_cache_mla_kernelIfhLNS_18Fp8KVCacheDataTypeE1EEEvPKT_S4_PT0_PKliiiiiiiPKf.has_indirect_call, 0
	.section	.AMDGPU.csdata,"",@progbits
; Kernel info:
; codeLenInByte = 2400
; TotalNumSgprs: 55
; NumVgprs: 18
; ScratchSize: 0
; MemoryBound: 0
; FloatMode: 240
; IeeeMode: 1
; LDSByteSize: 0 bytes/workgroup (compile time only)
; SGPRBlocks: 6
; VGPRBlocks: 4
; NumSGPRsForWavesPerEU: 55
; NumVGPRsForWavesPerEU: 18
; Occupancy: 10
; WaveLimiterHint : 1
; COMPUTE_PGM_RSRC2:SCRATCH_EN: 0
; COMPUTE_PGM_RSRC2:USER_SGPR: 6
; COMPUTE_PGM_RSRC2:TRAP_HANDLER: 0
; COMPUTE_PGM_RSRC2:TGID_X_EN: 1
; COMPUTE_PGM_RSRC2:TGID_Y_EN: 0
; COMPUTE_PGM_RSRC2:TGID_Z_EN: 0
; COMPUTE_PGM_RSRC2:TIDIG_COMP_CNT: 0
	.section	.text._ZN4vllm27concat_and_cache_mla_kernelIthLNS_18Fp8KVCacheDataTypeE1EEEvPKT_S4_PT0_PKliiiiiiiPKf,"axG",@progbits,_ZN4vllm27concat_and_cache_mla_kernelIthLNS_18Fp8KVCacheDataTypeE1EEEvPKT_S4_PT0_PKliiiiiiiPKf,comdat
	.protected	_ZN4vllm27concat_and_cache_mla_kernelIthLNS_18Fp8KVCacheDataTypeE1EEEvPKT_S4_PT0_PKliiiiiiiPKf ; -- Begin function _ZN4vllm27concat_and_cache_mla_kernelIthLNS_18Fp8KVCacheDataTypeE1EEEvPKT_S4_PT0_PKliiiiiiiPKf
	.globl	_ZN4vllm27concat_and_cache_mla_kernelIthLNS_18Fp8KVCacheDataTypeE1EEEvPKT_S4_PT0_PKliiiiiiiPKf
	.p2align	8
	.type	_ZN4vllm27concat_and_cache_mla_kernelIthLNS_18Fp8KVCacheDataTypeE1EEEvPKT_S4_PT0_PKliiiiiiiPKf,@function
_ZN4vllm27concat_and_cache_mla_kernelIthLNS_18Fp8KVCacheDataTypeE1EEEvPKT_S4_PT0_PKliiiiiiiPKf: ; @_ZN4vllm27concat_and_cache_mla_kernelIthLNS_18Fp8KVCacheDataTypeE1EEEvPKT_S4_PT0_PKliiiiiiiPKf
; %bb.0:
	s_load_dwordx2 s[0:1], s[4:5], 0x18
	s_mov_b32 s7, 0
	s_lshl_b64 s[2:3], s[6:7], 3
	s_waitcnt lgkmcnt(0)
	s_add_u32 s0, s0, s2
	s_addc_u32 s1, s1, s3
	s_load_dwordx2 s[0:1], s[0:1], 0x0
	s_waitcnt lgkmcnt(0)
	v_cmp_lt_i64_e64 s[2:3], s[0:1], 0
	s_and_b64 vcc, exec, s[2:3]
	s_cbranch_vccnz .LBB24_50
; %bb.1:
	s_load_dwordx8 s[8:15], s[4:5], 0x20
	s_waitcnt lgkmcnt(0)
	s_ashr_i32 s15, s14, 31
	s_or_b64 s[2:3], s[0:1], s[14:15]
	s_mov_b32 s2, s7
	s_cmp_lg_u64 s[2:3], 0
	s_cbranch_scc0 .LBB24_51
; %bb.2:
	s_ashr_i32 s2, s15, 31
	s_add_u32 s16, s14, s2
	s_mov_b32 s3, s2
	s_addc_u32 s17, s15, s2
	s_xor_b64 s[16:17], s[16:17], s[2:3]
	v_cvt_f32_u32_e32 v1, s16
	v_cvt_f32_u32_e32 v2, s17
	s_sub_u32 s7, 0, s16
	s_subb_u32 s22, 0, s17
	v_madmk_f32 v1, v2, 0x4f800000, v1
	v_rcp_f32_e32 v1, v1
	v_mul_f32_e32 v1, 0x5f7ffffc, v1
	v_mul_f32_e32 v2, 0x2f800000, v1
	v_trunc_f32_e32 v2, v2
	v_madmk_f32 v1, v2, 0xcf800000, v1
	v_cvt_u32_f32_e32 v2, v2
	v_cvt_u32_f32_e32 v1, v1
	v_readfirstlane_b32 s23, v2
	v_readfirstlane_b32 s20, v1
	s_mul_i32 s21, s7, s23
	s_mul_hi_u32 s25, s7, s20
	s_mul_i32 s24, s22, s20
	s_add_i32 s21, s25, s21
	s_add_i32 s21, s21, s24
	s_mul_i32 s26, s7, s20
	s_mul_i32 s25, s20, s21
	s_mul_hi_u32 s27, s20, s26
	s_mul_hi_u32 s24, s20, s21
	s_add_u32 s25, s27, s25
	s_addc_u32 s24, 0, s24
	s_mul_hi_u32 s28, s23, s26
	s_mul_i32 s26, s23, s26
	s_add_u32 s25, s25, s26
	s_mul_hi_u32 s27, s23, s21
	s_addc_u32 s24, s24, s28
	s_addc_u32 s25, s27, 0
	s_mul_i32 s21, s23, s21
	s_add_u32 s21, s24, s21
	s_addc_u32 s24, 0, s25
	s_add_u32 s25, s20, s21
	s_cselect_b64 s[20:21], -1, 0
	s_cmp_lg_u64 s[20:21], 0
	s_addc_u32 s23, s23, s24
	s_mul_i32 s20, s7, s23
	s_mul_hi_u32 s21, s7, s25
	s_add_i32 s20, s21, s20
	s_mul_i32 s22, s22, s25
	s_add_i32 s20, s20, s22
	s_mul_i32 s7, s7, s25
	s_mul_hi_u32 s22, s23, s7
	s_mul_i32 s24, s23, s7
	s_mul_i32 s27, s25, s20
	s_mul_hi_u32 s7, s25, s7
	s_mul_hi_u32 s26, s25, s20
	s_add_u32 s7, s7, s27
	s_addc_u32 s26, 0, s26
	s_add_u32 s7, s7, s24
	s_mul_hi_u32 s21, s23, s20
	s_addc_u32 s7, s26, s22
	s_addc_u32 s21, s21, 0
	s_mul_i32 s20, s23, s20
	s_add_u32 s7, s7, s20
	s_addc_u32 s22, 0, s21
	s_add_u32 s7, s25, s7
	s_cselect_b64 s[20:21], -1, 0
	s_cmp_lg_u64 s[20:21], 0
	s_addc_u32 s24, s23, s22
	s_ashr_i32 s20, s1, 31
	s_add_u32 s22, s0, s20
	s_mov_b32 s21, s20
	s_addc_u32 s23, s1, s20
	s_xor_b64 s[22:23], s[22:23], s[20:21]
	s_mul_i32 s26, s22, s24
	s_mul_hi_u32 s27, s22, s7
	s_mul_hi_u32 s25, s22, s24
	s_add_u32 s26, s27, s26
	s_addc_u32 s25, 0, s25
	s_mul_hi_u32 s28, s23, s7
	s_mul_i32 s7, s23, s7
	s_add_u32 s7, s26, s7
	s_mul_hi_u32 s27, s23, s24
	s_addc_u32 s7, s25, s28
	s_addc_u32 s25, s27, 0
	s_mul_i32 s24, s23, s24
	s_add_u32 s7, s7, s24
	s_addc_u32 s28, 0, s25
	s_mul_i32 s24, s16, s28
	s_mul_hi_u32 s25, s16, s7
	s_add_i32 s24, s25, s24
	s_mul_i32 s25, s17, s7
	s_add_i32 s29, s24, s25
	s_sub_i32 s26, s23, s29
	s_mul_i32 s24, s16, s7
	s_sub_u32 s22, s22, s24
	s_cselect_b64 s[24:25], -1, 0
	s_cmp_lg_u64 s[24:25], 0
	s_subb_u32 s30, s26, s17
	s_sub_u32 s31, s22, s16
	s_cselect_b64 s[26:27], -1, 0
	s_cmp_lg_u64 s[26:27], 0
	s_subb_u32 s26, s30, 0
	s_cmp_ge_u32 s26, s17
	s_cselect_b32 s27, -1, 0
	s_cmp_ge_u32 s31, s16
	s_cselect_b32 s30, -1, 0
	s_cmp_eq_u32 s26, s17
	s_cselect_b32 s26, s30, s27
	s_add_u32 s27, s7, 1
	s_addc_u32 s30, s28, 0
	s_add_u32 s31, s7, 2
	s_addc_u32 s33, s28, 0
	s_cmp_lg_u32 s26, 0
	s_cselect_b32 s26, s31, s27
	s_cselect_b32 s27, s33, s30
	s_cmp_lg_u64 s[24:25], 0
	s_subb_u32 s23, s23, s29
	s_cmp_ge_u32 s23, s17
	s_cselect_b32 s24, -1, 0
	s_cmp_ge_u32 s22, s16
	s_cselect_b32 s16, -1, 0
	s_cmp_eq_u32 s23, s17
	s_cselect_b32 s16, s16, s24
	s_cmp_lg_u32 s16, 0
	s_cselect_b32 s17, s27, s28
	s_cselect_b32 s16, s26, s7
	s_xor_b64 s[2:3], s[20:21], s[2:3]
	s_xor_b64 s[16:17], s[16:17], s[2:3]
	s_sub_u32 s16, s16, s2
	s_subb_u32 s17, s17, s3
	s_load_dwordx2 s[2:3], s[4:5], 0x10
	s_cbranch_execnz .LBB24_4
.LBB24_3:
	v_cvt_f32_u32_e32 v1, s14
	s_sub_i32 s7, 0, s14
	s_mov_b32 s17, 0
	v_rcp_iflag_f32_e32 v1, v1
	v_mul_f32_e32 v1, 0x4f7ffffe, v1
	v_cvt_u32_f32_e32 v1, v1
	v_readfirstlane_b32 s16, v1
	s_mul_i32 s7, s7, s16
	s_mul_hi_u32 s7, s16, s7
	s_add_i32 s16, s16, s7
	s_mul_hi_u32 s7, s0, s16
	s_mul_i32 s18, s7, s14
	s_sub_i32 s18, s0, s18
	s_add_i32 s16, s7, 1
	s_sub_i32 s19, s18, s14
	s_cmp_ge_u32 s18, s14
	s_cselect_b32 s7, s16, s7
	s_cselect_b32 s18, s19, s18
	s_add_i32 s16, s7, 1
	s_cmp_ge_u32 s18, s14
	s_cselect_b32 s16, s16, s7
.LBB24_4:
	s_mul_i32 s7, s16, s15
	s_mul_hi_u32 s15, s16, s14
	s_load_dwordx2 s[18:19], s[4:5], 0x8
	s_load_dwordx2 s[20:21], s[4:5], 0x40
	s_add_i32 s7, s15, s7
	s_mul_i32 s15, s17, s14
	s_add_i32 s7, s7, s15
	s_mul_i32 s14, s16, s14
	s_sub_u32 s33, s0, s14
	s_subb_u32 s41, s1, s7
	v_cmp_gt_i32_e32 vcc, s12, v0
	s_mul_hi_u32 s42, s16, s8
	s_mul_i32 s43, s17, s8
	s_mul_i32 s17, s16, s8
	s_mul_hi_u32 s40, s33, s9
	s_mul_i32 s41, s41, s9
	s_mul_i32 s7, s33, s9
	s_and_saveexec_b64 s[14:15], vcc
	s_cbranch_execz .LBB24_27
; %bb.5:
	s_ashr_i32 s22, s10, 31
	s_mul_hi_u32 s23, s10, s6
	s_mul_i32 s22, s22, s6
	s_add_i32 s23, s23, s22
	s_mul_i32 s22, s10, s6
	s_ashr_i32 s10, s8, 31
	s_mul_i32 s10, s16, s10
	s_load_dwordx2 s[0:1], s[4:5], 0x0
	s_load_dword s26, s[4:5], 0x54
	s_add_i32 s10, s42, s10
	s_add_i32 s24, s10, s43
	s_ashr_i32 s10, s9, 31
	s_mul_i32 s10, s33, s10
	s_add_i32 s10, s40, s10
	s_add_i32 s25, s10, s41
	s_lshl_b64 s[22:23], s[22:23], 1
	s_waitcnt lgkmcnt(0)
	s_add_u32 s10, s0, s22
	s_addc_u32 s0, s1, s23
	s_load_dword s44, s[20:21], 0x0
	s_add_u32 s1, s2, s17
	s_addc_u32 s22, s3, s24
	s_add_u32 s45, s1, s7
	s_addc_u32 s46, s22, s25
	s_and_b32 s47, s26, 0xffff
	s_mov_b64 s[22:23], 0
	v_mov_b32_e32 v8, s0
	v_mov_b32_e32 v2, 0
	s_mov_b64 s[24:25], 0x7f800000
	s_movk_i32 s48, 0x80
	s_mov_b64 s[26:27], 0x43e00001
	s_movk_i32 s49, 0x7a
	;; [unrolled: 2-line block ×3, first 2 shown]
	v_mov_b32_e32 v9, 0x78
	v_mov_b32_e32 v10, 0xffffff82
	;; [unrolled: 1-line block ×3, first 2 shown]
	s_branch .LBB24_7
.LBB24_6:                               ;   in Loop: Header=BB24_7 Depth=1
	s_or_b64 exec, exec, s[0:1]
	v_mov_b32_e32 v6, s46
	v_add_co_u32_e32 v5, vcc, s45, v3
	v_addc_co_u32_e32 v6, vcc, v6, v4, vcc
	v_add_u32_e32 v3, s47, v3
	v_cmp_le_i32_e32 vcc, s12, v3
	s_or_b64 s[22:23], vcc, s[22:23]
	global_store_byte v[5:6], v1, off
	s_andn2_b64 exec, exec, s[22:23]
	s_cbranch_execz .LBB24_27
.LBB24_7:                               ; =>This Inner Loop Header: Depth=1
	v_ashrrev_i32_e32 v4, 31, v3
	v_lshlrev_b64 v[5:6], 1, v[3:4]
	v_add_co_u32_e32 v5, vcc, s10, v5
	v_addc_co_u32_e32 v6, vcc, v8, v6, vcc
	global_load_ushort v1, v[5:6], off
	s_waitcnt vmcnt(0)
	v_cvt_f32_f16_e32 v1, v1
	s_waitcnt lgkmcnt(0)
	v_div_scale_f32 v5, s[0:1], s44, s44, v1
	v_div_scale_f32 v6, vcc, v1, s44, v1
	v_rcp_f32_e32 v7, v5
	v_fma_f32 v11, -v5, v7, 1.0
	v_fmac_f32_e32 v7, v11, v7
	v_mul_f32_e32 v11, v6, v7
	v_fma_f32 v12, -v5, v11, v6
	v_fmac_f32_e32 v11, v12, v7
	v_fma_f32 v5, -v5, v11, v6
	v_div_fmas_f32 v5, v5, v7, v11
	v_div_fixup_f32 v1, v5, s44, v1
	v_cvt_f16_f32_e32 v1, v1
	v_cvt_f32_f16_e32 v5, v1
	v_and_b32_e32 v1, 0x7f800000, v5
	v_cmp_ne_u64_e32 vcc, s[24:25], v[1:2]
                                        ; implicit-def: $vgpr1
	s_and_saveexec_b64 s[0:1], vcc
	s_xor_b64 s[30:31], exec, s[0:1]
	s_cbranch_execz .LBB24_25
; %bb.8:                                ;   in Loop: Header=BB24_7 Depth=1
	v_and_b32_e32 v1, 0x7fffffff, v5
	v_cmp_gt_u64_e32 vcc, s[26:27], v[1:2]
	v_and_b32_sdwa v11, v5, s48 dst_sel:DWORD dst_unused:UNUSED_PAD src0_sel:BYTE_3 src1_sel:DWORD
                                        ; implicit-def: $vgpr1
	s_and_saveexec_b64 s[0:1], vcc
	s_xor_b64 s[34:35], exec, s[0:1]
	s_cbranch_execz .LBB24_22
; %bb.9:                                ;   in Loop: Header=BB24_7 Depth=1
	v_cmp_ne_u32_e32 vcc, 0, v5
	v_mov_b32_e32 v1, 0
	s_and_saveexec_b64 s[36:37], vcc
	s_cbranch_execz .LBB24_21
; %bb.10:                               ;   in Loop: Header=BB24_7 Depth=1
	v_bfe_u32 v12, v5, 23, 8
	v_and_b32_e32 v1, 0x7fffff, v5
	v_sub_u32_e32 v5, 0x79, v12
	v_cmp_gt_u32_e32 vcc, s49, v12
	v_cndmask_b32_e32 v5, 0, v5, vcc
	v_cmp_eq_u32_e32 vcc, 0, v12
	v_cndmask_b32_e32 v13, v5, v9, vcc
	v_add_u32_e32 v5, 20, v13
	v_or_b32_e32 v7, 0x800000, v1
	v_lshlrev_b64 v[5:6], v5, -1
	v_cndmask_b32_e32 v1, v7, v1, vcc
	v_bfi_b32 v14, v5, 0, v1
	v_add_u32_e32 v5, 19, v13
	v_bfi_b32 v15, v6, 0, 0
	v_lshlrev_b64 v[16:17], v5, 1
	v_lshrrev_b64 v[5:6], v13, v[1:2]
	v_cmp_eq_u64_e64 s[0:1], v[14:15], v[16:17]
	v_mov_b32_e32 v7, v6
	v_mov_b32_e32 v6, v5
	s_and_saveexec_b64 s[38:39], s[0:1]
; %bb.11:                               ;   in Loop: Header=BB24_7 Depth=1
	v_bfe_u32 v1, v5, 20, 1
	v_add_co_u32_e64 v1, s[0:1], v5, v1
	v_add_co_u32_e64 v6, s[0:1], -1, v1
; %bb.12:                               ;   in Loop: Header=BB24_7 Depth=1
	s_or_b64 exec, exec, s[38:39]
	v_add_u32_e32 v1, 0xffffff81, v12
	v_cndmask_b32_e32 v1, v1, v10, vcc
	v_lshrrev_b32_e32 v7, 23, v5
	v_add3_u32 v13, v13, v1, v7
	v_add_u32_e32 v12, 6, v13
	v_and_b32_e32 v1, 0xfffff, v6
	v_add_u32_e32 v1, v1, v5
	v_cmp_ne_u32_e32 vcc, 0, v12
                                        ; implicit-def: $vgpr5_vgpr6
                                        ; implicit-def: $vgpr7
	s_and_saveexec_b64 s[0:1], vcc
	s_xor_b64 s[0:1], exec, s[0:1]
; %bb.13:                               ;   in Loop: Header=BB24_7 Depth=1
	v_cmp_lt_u64_e32 vcc, s[28:29], v[1:2]
	v_add_u32_e32 v5, 7, v13
	v_cndmask_b32_e32 v7, v12, v5, vcc
	v_cndmask_b32_e64 v5, 0, 1, vcc
	v_lshrrev_b64 v[5:6], v5, v[1:2]
; %bb.14:                               ;   in Loop: Header=BB24_7 Depth=1
	s_andn2_saveexec_b64 s[0:1], s[0:1]
; %bb.15:                               ;   in Loop: Header=BB24_7 Depth=1
	v_mov_b32_e32 v6, v2
	v_bfe_u32 v7, v1, 23, 1
	v_mov_b32_e32 v5, v1
; %bb.16:                               ;   in Loop: Header=BB24_7 Depth=1
	s_or_b64 exec, exec, s[0:1]
	v_lshrrev_b64 v[5:6], 20, v[5:6]
	v_cmp_gt_i32_e32 vcc, 16, v7
	v_cndmask_b32_e32 v6, 0, v6, vcc
	v_cndmask_b32_e32 v5, 7, v5, vcc
	v_cmp_ne_u64_e32 vcc, 0, v[5:6]
	v_cmp_ne_u32_e64 s[0:1], 0, v7
	s_or_b64 s[0:1], s[0:1], vcc
                                        ; implicit-def: $vgpr1
	s_and_saveexec_b64 s[38:39], s[0:1]
	s_xor_b64 s[0:1], exec, s[38:39]
; %bb.17:                               ;   in Loop: Header=BB24_7 Depth=1
	v_min_i32_e32 v1, 15, v7
	v_lshl_or_b32 v1, v1, 3, v11
	v_and_or_b32 v1, v5, 7, v1
                                        ; implicit-def: $vgpr11
; %bb.18:                               ;   in Loop: Header=BB24_7 Depth=1
	s_andn2_saveexec_b64 s[0:1], s[0:1]
; %bb.19:                               ;   in Loop: Header=BB24_7 Depth=1
	v_mov_b32_e32 v1, v11
; %bb.20:                               ;   in Loop: Header=BB24_7 Depth=1
	s_or_b64 exec, exec, s[0:1]
.LBB24_21:                              ;   in Loop: Header=BB24_7 Depth=1
	s_or_b64 exec, exec, s[36:37]
                                        ; implicit-def: $vgpr11
.LBB24_22:                              ;   in Loop: Header=BB24_7 Depth=1
	s_andn2_saveexec_b64 s[0:1], s[34:35]
; %bb.23:                               ;   in Loop: Header=BB24_7 Depth=1
	v_or_b32_e32 v1, 0x7e, v11
; %bb.24:                               ;   in Loop: Header=BB24_7 Depth=1
	s_or_b64 exec, exec, s[0:1]
                                        ; implicit-def: $vgpr5
.LBB24_25:                              ;   in Loop: Header=BB24_7 Depth=1
	s_andn2_saveexec_b64 s[0:1], s[30:31]
	s_cbranch_execz .LBB24_6
; %bb.26:                               ;   in Loop: Header=BB24_7 Depth=1
	v_or_b32_sdwa v1, v5, s50 dst_sel:DWORD dst_unused:UNUSED_PAD src0_sel:BYTE_3 src1_sel:DWORD
	s_branch .LBB24_6
.LBB24_27:
	s_or_b64 exec, exec, s[14:15]
	v_cmp_gt_i32_e32 vcc, s13, v0
	s_and_saveexec_b64 s[0:1], vcc
	s_cbranch_execz .LBB24_50
; %bb.28:
	s_ashr_i32 s0, s11, 31
	s_mul_hi_u32 s1, s11, s6
	s_mul_i32 s0, s0, s6
	s_add_i32 s1, s1, s0
	s_mul_i32 s0, s11, s6
	s_ashr_i32 s6, s8, 31
	s_ashr_i32 s8, s9, 31
	s_mul_i32 s6, s16, s6
	s_mul_i32 s33, s33, s8
	s_add_i32 s6, s42, s6
	s_add_i32 s8, s40, s33
	;; [unrolled: 1-line block ×4, first 2 shown]
	s_ashr_i32 s9, s12, 31
	s_lshl_b64 s[0:1], s[0:1], 1
	s_waitcnt lgkmcnt(0)
	s_add_u32 s22, s18, s0
	s_addc_u32 s0, s19, s1
	s_add_u32 s1, s2, s17
	s_addc_u32 s2, s3, s6
	s_load_dword s3, s[4:5], 0x54
	s_add_u32 s1, s1, s7
	s_load_dword s20, s[20:21], 0x0
	s_addc_u32 s2, s2, s8
	s_add_u32 s12, s1, s12
	s_addc_u32 s21, s2, s9
	s_waitcnt lgkmcnt(0)
	s_and_b32 s23, s3, 0xffff
	s_mov_b64 s[2:3], 0
	v_mov_b32_e32 v7, s0
	v_mov_b32_e32 v3, 0
	s_mov_b64 s[4:5], 0x7f800000
	s_movk_i32 s24, 0x80
	s_mov_b64 s[6:7], 0x43e00001
	s_movk_i32 s25, 0x7a
	;; [unrolled: 2-line block ×3, first 2 shown]
	v_mov_b32_e32 v8, 0x78
	v_mov_b32_e32 v9, 0xffffff82
	s_branch .LBB24_30
.LBB24_29:                              ;   in Loop: Header=BB24_30 Depth=1
	s_or_b64 exec, exec, s[0:1]
	v_mov_b32_e32 v5, s21
	v_add_co_u32_e32 v4, vcc, s12, v0
	v_addc_co_u32_e32 v5, vcc, v5, v1, vcc
	v_add_u32_e32 v0, s23, v0
	v_cmp_le_i32_e32 vcc, s13, v0
	s_or_b64 s[2:3], vcc, s[2:3]
	global_store_byte v[4:5], v2, off
	s_andn2_b64 exec, exec, s[2:3]
	s_cbranch_execz .LBB24_50
.LBB24_30:                              ; =>This Inner Loop Header: Depth=1
	v_ashrrev_i32_e32 v1, 31, v0
	v_lshlrev_b64 v[4:5], 1, v[0:1]
	v_add_co_u32_e32 v4, vcc, s22, v4
	v_addc_co_u32_e32 v5, vcc, v7, v5, vcc
	global_load_ushort v2, v[4:5], off
	s_waitcnt vmcnt(0)
	v_cvt_f32_f16_e32 v2, v2
	v_div_scale_f32 v4, s[0:1], s20, s20, v2
	v_div_scale_f32 v5, vcc, v2, s20, v2
	v_rcp_f32_e32 v6, v4
	v_fma_f32 v10, -v4, v6, 1.0
	v_fmac_f32_e32 v6, v10, v6
	v_mul_f32_e32 v10, v5, v6
	v_fma_f32 v11, -v4, v10, v5
	v_fmac_f32_e32 v10, v11, v6
	v_fma_f32 v4, -v4, v10, v5
	v_div_fmas_f32 v4, v4, v6, v10
	v_div_fixup_f32 v2, v4, s20, v2
	v_cvt_f16_f32_e32 v2, v2
	v_cvt_f32_f16_e32 v4, v2
	v_and_b32_e32 v2, 0x7f800000, v4
	v_cmp_ne_u64_e32 vcc, s[4:5], v[2:3]
                                        ; implicit-def: $vgpr2
	s_and_saveexec_b64 s[0:1], vcc
	s_xor_b64 s[10:11], exec, s[0:1]
	s_cbranch_execz .LBB24_48
; %bb.31:                               ;   in Loop: Header=BB24_30 Depth=1
	v_and_b32_e32 v2, 0x7fffffff, v4
	v_cmp_gt_u64_e32 vcc, s[6:7], v[2:3]
	v_and_b32_sdwa v10, v4, s24 dst_sel:DWORD dst_unused:UNUSED_PAD src0_sel:BYTE_3 src1_sel:DWORD
                                        ; implicit-def: $vgpr2
	s_and_saveexec_b64 s[0:1], vcc
	s_xor_b64 s[14:15], exec, s[0:1]
	s_cbranch_execz .LBB24_45
; %bb.32:                               ;   in Loop: Header=BB24_30 Depth=1
	v_cmp_ne_u32_e32 vcc, 0, v4
	v_mov_b32_e32 v2, 0
	s_and_saveexec_b64 s[16:17], vcc
	s_cbranch_execz .LBB24_44
; %bb.33:                               ;   in Loop: Header=BB24_30 Depth=1
	v_bfe_u32 v11, v4, 23, 8
	v_and_b32_e32 v2, 0x7fffff, v4
	v_sub_u32_e32 v4, 0x79, v11
	v_cmp_gt_u32_e32 vcc, s25, v11
	v_cndmask_b32_e32 v4, 0, v4, vcc
	v_cmp_eq_u32_e32 vcc, 0, v11
	v_cndmask_b32_e32 v12, v4, v8, vcc
	v_add_u32_e32 v4, 20, v12
	v_or_b32_e32 v6, 0x800000, v2
	v_lshlrev_b64 v[4:5], v4, -1
	v_cndmask_b32_e32 v2, v6, v2, vcc
	v_bfi_b32 v13, v4, 0, v2
	v_add_u32_e32 v4, 19, v12
	v_bfi_b32 v14, v5, 0, 0
	v_lshlrev_b64 v[15:16], v4, 1
	v_lshrrev_b64 v[4:5], v12, v[2:3]
	v_cmp_eq_u64_e64 s[0:1], v[13:14], v[15:16]
	v_mov_b32_e32 v6, v5
	v_mov_b32_e32 v5, v4
	s_and_saveexec_b64 s[18:19], s[0:1]
; %bb.34:                               ;   in Loop: Header=BB24_30 Depth=1
	v_bfe_u32 v2, v4, 20, 1
	v_add_co_u32_e64 v2, s[0:1], v4, v2
	v_add_co_u32_e64 v5, s[0:1], -1, v2
; %bb.35:                               ;   in Loop: Header=BB24_30 Depth=1
	s_or_b64 exec, exec, s[18:19]
	v_add_u32_e32 v2, 0xffffff81, v11
	v_cndmask_b32_e32 v2, v2, v9, vcc
	v_lshrrev_b32_e32 v6, 23, v4
	v_add3_u32 v12, v12, v2, v6
	v_add_u32_e32 v11, 6, v12
	v_and_b32_e32 v2, 0xfffff, v5
	v_add_u32_e32 v2, v2, v4
	v_cmp_ne_u32_e32 vcc, 0, v11
                                        ; implicit-def: $vgpr4_vgpr5
                                        ; implicit-def: $vgpr6
	s_and_saveexec_b64 s[0:1], vcc
	s_xor_b64 s[0:1], exec, s[0:1]
; %bb.36:                               ;   in Loop: Header=BB24_30 Depth=1
	v_cmp_lt_u64_e32 vcc, s[8:9], v[2:3]
	v_add_u32_e32 v4, 7, v12
	v_cndmask_b32_e32 v6, v11, v4, vcc
	v_cndmask_b32_e64 v4, 0, 1, vcc
	v_lshrrev_b64 v[4:5], v4, v[2:3]
; %bb.37:                               ;   in Loop: Header=BB24_30 Depth=1
	s_andn2_saveexec_b64 s[0:1], s[0:1]
; %bb.38:                               ;   in Loop: Header=BB24_30 Depth=1
	v_mov_b32_e32 v5, v3
	v_bfe_u32 v6, v2, 23, 1
	v_mov_b32_e32 v4, v2
; %bb.39:                               ;   in Loop: Header=BB24_30 Depth=1
	s_or_b64 exec, exec, s[0:1]
	v_lshrrev_b64 v[4:5], 20, v[4:5]
	v_cmp_gt_i32_e32 vcc, 16, v6
	v_cndmask_b32_e32 v5, 0, v5, vcc
	v_cndmask_b32_e32 v4, 7, v4, vcc
	v_cmp_ne_u64_e32 vcc, 0, v[4:5]
	v_cmp_ne_u32_e64 s[0:1], 0, v6
	s_or_b64 s[0:1], s[0:1], vcc
                                        ; implicit-def: $vgpr2
	s_and_saveexec_b64 s[18:19], s[0:1]
	s_xor_b64 s[0:1], exec, s[18:19]
; %bb.40:                               ;   in Loop: Header=BB24_30 Depth=1
	v_min_i32_e32 v2, 15, v6
	v_lshl_or_b32 v2, v2, 3, v10
	v_and_or_b32 v2, v4, 7, v2
                                        ; implicit-def: $vgpr10
; %bb.41:                               ;   in Loop: Header=BB24_30 Depth=1
	s_andn2_saveexec_b64 s[0:1], s[0:1]
; %bb.42:                               ;   in Loop: Header=BB24_30 Depth=1
	v_mov_b32_e32 v2, v10
; %bb.43:                               ;   in Loop: Header=BB24_30 Depth=1
	s_or_b64 exec, exec, s[0:1]
.LBB24_44:                              ;   in Loop: Header=BB24_30 Depth=1
	s_or_b64 exec, exec, s[16:17]
                                        ; implicit-def: $vgpr10
.LBB24_45:                              ;   in Loop: Header=BB24_30 Depth=1
	s_andn2_saveexec_b64 s[0:1], s[14:15]
; %bb.46:                               ;   in Loop: Header=BB24_30 Depth=1
	v_or_b32_e32 v2, 0x7e, v10
; %bb.47:                               ;   in Loop: Header=BB24_30 Depth=1
	s_or_b64 exec, exec, s[0:1]
                                        ; implicit-def: $vgpr4
.LBB24_48:                              ;   in Loop: Header=BB24_30 Depth=1
	s_andn2_saveexec_b64 s[0:1], s[10:11]
	s_cbranch_execz .LBB24_29
; %bb.49:                               ;   in Loop: Header=BB24_30 Depth=1
	v_or_b32_sdwa v2, v4, s26 dst_sel:DWORD dst_unused:UNUSED_PAD src0_sel:BYTE_3 src1_sel:DWORD
	s_branch .LBB24_29
.LBB24_50:
	s_endpgm
.LBB24_51:
                                        ; implicit-def: $sgpr16_sgpr17
	s_load_dwordx2 s[2:3], s[4:5], 0x10
	s_branch .LBB24_3
	.section	.rodata,"a",@progbits
	.p2align	6, 0x0
	.amdhsa_kernel _ZN4vllm27concat_and_cache_mla_kernelIthLNS_18Fp8KVCacheDataTypeE1EEEvPKT_S4_PT0_PKliiiiiiiPKf
		.amdhsa_group_segment_fixed_size 0
		.amdhsa_private_segment_fixed_size 0
		.amdhsa_kernarg_size 328
		.amdhsa_user_sgpr_count 6
		.amdhsa_user_sgpr_private_segment_buffer 1
		.amdhsa_user_sgpr_dispatch_ptr 0
		.amdhsa_user_sgpr_queue_ptr 0
		.amdhsa_user_sgpr_kernarg_segment_ptr 1
		.amdhsa_user_sgpr_dispatch_id 0
		.amdhsa_user_sgpr_flat_scratch_init 0
		.amdhsa_user_sgpr_private_segment_size 0
		.amdhsa_uses_dynamic_stack 0
		.amdhsa_system_sgpr_private_segment_wavefront_offset 0
		.amdhsa_system_sgpr_workgroup_id_x 1
		.amdhsa_system_sgpr_workgroup_id_y 0
		.amdhsa_system_sgpr_workgroup_id_z 0
		.amdhsa_system_sgpr_workgroup_info 0
		.amdhsa_system_vgpr_workitem_id 0
		.amdhsa_next_free_vgpr 18
		.amdhsa_next_free_sgpr 51
		.amdhsa_reserve_vcc 1
		.amdhsa_reserve_flat_scratch 0
		.amdhsa_float_round_mode_32 0
		.amdhsa_float_round_mode_16_64 0
		.amdhsa_float_denorm_mode_32 3
		.amdhsa_float_denorm_mode_16_64 3
		.amdhsa_dx10_clamp 1
		.amdhsa_ieee_mode 1
		.amdhsa_fp16_overflow 0
		.amdhsa_exception_fp_ieee_invalid_op 0
		.amdhsa_exception_fp_denorm_src 0
		.amdhsa_exception_fp_ieee_div_zero 0
		.amdhsa_exception_fp_ieee_overflow 0
		.amdhsa_exception_fp_ieee_underflow 0
		.amdhsa_exception_fp_ieee_inexact 0
		.amdhsa_exception_int_div_zero 0
	.end_amdhsa_kernel
	.section	.text._ZN4vllm27concat_and_cache_mla_kernelIthLNS_18Fp8KVCacheDataTypeE1EEEvPKT_S4_PT0_PKliiiiiiiPKf,"axG",@progbits,_ZN4vllm27concat_and_cache_mla_kernelIthLNS_18Fp8KVCacheDataTypeE1EEEvPKT_S4_PT0_PKliiiiiiiPKf,comdat
.Lfunc_end24:
	.size	_ZN4vllm27concat_and_cache_mla_kernelIthLNS_18Fp8KVCacheDataTypeE1EEEvPKT_S4_PT0_PKliiiiiiiPKf, .Lfunc_end24-_ZN4vllm27concat_and_cache_mla_kernelIthLNS_18Fp8KVCacheDataTypeE1EEEvPKT_S4_PT0_PKliiiiiiiPKf
                                        ; -- End function
	.set _ZN4vllm27concat_and_cache_mla_kernelIthLNS_18Fp8KVCacheDataTypeE1EEEvPKT_S4_PT0_PKliiiiiiiPKf.num_vgpr, 18
	.set _ZN4vllm27concat_and_cache_mla_kernelIthLNS_18Fp8KVCacheDataTypeE1EEEvPKT_S4_PT0_PKliiiiiiiPKf.num_agpr, 0
	.set _ZN4vllm27concat_and_cache_mla_kernelIthLNS_18Fp8KVCacheDataTypeE1EEEvPKT_S4_PT0_PKliiiiiiiPKf.numbered_sgpr, 51
	.set _ZN4vllm27concat_and_cache_mla_kernelIthLNS_18Fp8KVCacheDataTypeE1EEEvPKT_S4_PT0_PKliiiiiiiPKf.num_named_barrier, 0
	.set _ZN4vllm27concat_and_cache_mla_kernelIthLNS_18Fp8KVCacheDataTypeE1EEEvPKT_S4_PT0_PKliiiiiiiPKf.private_seg_size, 0
	.set _ZN4vllm27concat_and_cache_mla_kernelIthLNS_18Fp8KVCacheDataTypeE1EEEvPKT_S4_PT0_PKliiiiiiiPKf.uses_vcc, 1
	.set _ZN4vllm27concat_and_cache_mla_kernelIthLNS_18Fp8KVCacheDataTypeE1EEEvPKT_S4_PT0_PKliiiiiiiPKf.uses_flat_scratch, 0
	.set _ZN4vllm27concat_and_cache_mla_kernelIthLNS_18Fp8KVCacheDataTypeE1EEEvPKT_S4_PT0_PKliiiiiiiPKf.has_dyn_sized_stack, 0
	.set _ZN4vllm27concat_and_cache_mla_kernelIthLNS_18Fp8KVCacheDataTypeE1EEEvPKT_S4_PT0_PKliiiiiiiPKf.has_recursion, 0
	.set _ZN4vllm27concat_and_cache_mla_kernelIthLNS_18Fp8KVCacheDataTypeE1EEEvPKT_S4_PT0_PKliiiiiiiPKf.has_indirect_call, 0
	.section	.AMDGPU.csdata,"",@progbits
; Kernel info:
; codeLenInByte = 2428
; TotalNumSgprs: 55
; NumVgprs: 18
; ScratchSize: 0
; MemoryBound: 0
; FloatMode: 240
; IeeeMode: 1
; LDSByteSize: 0 bytes/workgroup (compile time only)
; SGPRBlocks: 6
; VGPRBlocks: 4
; NumSGPRsForWavesPerEU: 55
; NumVGPRsForWavesPerEU: 18
; Occupancy: 10
; WaveLimiterHint : 1
; COMPUTE_PGM_RSRC2:SCRATCH_EN: 0
; COMPUTE_PGM_RSRC2:USER_SGPR: 6
; COMPUTE_PGM_RSRC2:TRAP_HANDLER: 0
; COMPUTE_PGM_RSRC2:TGID_X_EN: 1
; COMPUTE_PGM_RSRC2:TGID_Y_EN: 0
; COMPUTE_PGM_RSRC2:TGID_Z_EN: 0
; COMPUTE_PGM_RSRC2:TIDIG_COMP_CNT: 0
	.section	.text._ZN4vllm27concat_and_cache_mla_kernelI14__hip_bfloat16hLNS_18Fp8KVCacheDataTypeE1EEEvPKT_S5_PT0_PKliiiiiiiPKf,"axG",@progbits,_ZN4vllm27concat_and_cache_mla_kernelI14__hip_bfloat16hLNS_18Fp8KVCacheDataTypeE1EEEvPKT_S5_PT0_PKliiiiiiiPKf,comdat
	.protected	_ZN4vllm27concat_and_cache_mla_kernelI14__hip_bfloat16hLNS_18Fp8KVCacheDataTypeE1EEEvPKT_S5_PT0_PKliiiiiiiPKf ; -- Begin function _ZN4vllm27concat_and_cache_mla_kernelI14__hip_bfloat16hLNS_18Fp8KVCacheDataTypeE1EEEvPKT_S5_PT0_PKliiiiiiiPKf
	.globl	_ZN4vllm27concat_and_cache_mla_kernelI14__hip_bfloat16hLNS_18Fp8KVCacheDataTypeE1EEEvPKT_S5_PT0_PKliiiiiiiPKf
	.p2align	8
	.type	_ZN4vllm27concat_and_cache_mla_kernelI14__hip_bfloat16hLNS_18Fp8KVCacheDataTypeE1EEEvPKT_S5_PT0_PKliiiiiiiPKf,@function
_ZN4vllm27concat_and_cache_mla_kernelI14__hip_bfloat16hLNS_18Fp8KVCacheDataTypeE1EEEvPKT_S5_PT0_PKliiiiiiiPKf: ; @_ZN4vllm27concat_and_cache_mla_kernelI14__hip_bfloat16hLNS_18Fp8KVCacheDataTypeE1EEEvPKT_S5_PT0_PKliiiiiiiPKf
; %bb.0:
	s_load_dwordx2 s[0:1], s[4:5], 0x18
	s_mov_b32 s7, 0
	s_lshl_b64 s[2:3], s[6:7], 3
	s_waitcnt lgkmcnt(0)
	s_add_u32 s0, s0, s2
	s_addc_u32 s1, s1, s3
	s_load_dwordx2 s[0:1], s[0:1], 0x0
	s_waitcnt lgkmcnt(0)
	v_cmp_lt_i64_e64 s[2:3], s[0:1], 0
	s_and_b64 vcc, exec, s[2:3]
	s_cbranch_vccnz .LBB25_50
; %bb.1:
	s_load_dwordx8 s[8:15], s[4:5], 0x20
	s_waitcnt lgkmcnt(0)
	s_ashr_i32 s15, s14, 31
	s_or_b64 s[2:3], s[0:1], s[14:15]
	s_mov_b32 s2, s7
	s_cmp_lg_u64 s[2:3], 0
	s_cbranch_scc0 .LBB25_51
; %bb.2:
	s_ashr_i32 s2, s15, 31
	s_add_u32 s16, s14, s2
	s_mov_b32 s3, s2
	s_addc_u32 s17, s15, s2
	s_xor_b64 s[16:17], s[16:17], s[2:3]
	v_cvt_f32_u32_e32 v1, s16
	v_cvt_f32_u32_e32 v2, s17
	s_sub_u32 s7, 0, s16
	s_subb_u32 s22, 0, s17
	v_madmk_f32 v1, v2, 0x4f800000, v1
	v_rcp_f32_e32 v1, v1
	v_mul_f32_e32 v1, 0x5f7ffffc, v1
	v_mul_f32_e32 v2, 0x2f800000, v1
	v_trunc_f32_e32 v2, v2
	v_madmk_f32 v1, v2, 0xcf800000, v1
	v_cvt_u32_f32_e32 v2, v2
	v_cvt_u32_f32_e32 v1, v1
	v_readfirstlane_b32 s23, v2
	v_readfirstlane_b32 s20, v1
	s_mul_i32 s21, s7, s23
	s_mul_hi_u32 s25, s7, s20
	s_mul_i32 s24, s22, s20
	s_add_i32 s21, s25, s21
	s_add_i32 s21, s21, s24
	s_mul_i32 s26, s7, s20
	s_mul_i32 s25, s20, s21
	s_mul_hi_u32 s27, s20, s26
	s_mul_hi_u32 s24, s20, s21
	s_add_u32 s25, s27, s25
	s_addc_u32 s24, 0, s24
	s_mul_hi_u32 s28, s23, s26
	s_mul_i32 s26, s23, s26
	s_add_u32 s25, s25, s26
	s_mul_hi_u32 s27, s23, s21
	s_addc_u32 s24, s24, s28
	s_addc_u32 s25, s27, 0
	s_mul_i32 s21, s23, s21
	s_add_u32 s21, s24, s21
	s_addc_u32 s24, 0, s25
	s_add_u32 s25, s20, s21
	s_cselect_b64 s[20:21], -1, 0
	s_cmp_lg_u64 s[20:21], 0
	s_addc_u32 s23, s23, s24
	s_mul_i32 s20, s7, s23
	s_mul_hi_u32 s21, s7, s25
	s_add_i32 s20, s21, s20
	s_mul_i32 s22, s22, s25
	s_add_i32 s20, s20, s22
	s_mul_i32 s7, s7, s25
	s_mul_hi_u32 s22, s23, s7
	s_mul_i32 s24, s23, s7
	s_mul_i32 s27, s25, s20
	s_mul_hi_u32 s7, s25, s7
	s_mul_hi_u32 s26, s25, s20
	s_add_u32 s7, s7, s27
	s_addc_u32 s26, 0, s26
	s_add_u32 s7, s7, s24
	s_mul_hi_u32 s21, s23, s20
	s_addc_u32 s7, s26, s22
	s_addc_u32 s21, s21, 0
	s_mul_i32 s20, s23, s20
	s_add_u32 s7, s7, s20
	s_addc_u32 s22, 0, s21
	s_add_u32 s7, s25, s7
	s_cselect_b64 s[20:21], -1, 0
	s_cmp_lg_u64 s[20:21], 0
	s_addc_u32 s24, s23, s22
	s_ashr_i32 s20, s1, 31
	s_add_u32 s22, s0, s20
	s_mov_b32 s21, s20
	s_addc_u32 s23, s1, s20
	s_xor_b64 s[22:23], s[22:23], s[20:21]
	s_mul_i32 s26, s22, s24
	s_mul_hi_u32 s27, s22, s7
	s_mul_hi_u32 s25, s22, s24
	s_add_u32 s26, s27, s26
	s_addc_u32 s25, 0, s25
	s_mul_hi_u32 s28, s23, s7
	s_mul_i32 s7, s23, s7
	s_add_u32 s7, s26, s7
	s_mul_hi_u32 s27, s23, s24
	s_addc_u32 s7, s25, s28
	s_addc_u32 s25, s27, 0
	s_mul_i32 s24, s23, s24
	s_add_u32 s7, s7, s24
	s_addc_u32 s28, 0, s25
	s_mul_i32 s24, s16, s28
	s_mul_hi_u32 s25, s16, s7
	s_add_i32 s24, s25, s24
	s_mul_i32 s25, s17, s7
	s_add_i32 s29, s24, s25
	s_sub_i32 s26, s23, s29
	s_mul_i32 s24, s16, s7
	s_sub_u32 s22, s22, s24
	s_cselect_b64 s[24:25], -1, 0
	s_cmp_lg_u64 s[24:25], 0
	s_subb_u32 s30, s26, s17
	s_sub_u32 s31, s22, s16
	s_cselect_b64 s[26:27], -1, 0
	s_cmp_lg_u64 s[26:27], 0
	s_subb_u32 s26, s30, 0
	s_cmp_ge_u32 s26, s17
	s_cselect_b32 s27, -1, 0
	s_cmp_ge_u32 s31, s16
	s_cselect_b32 s30, -1, 0
	s_cmp_eq_u32 s26, s17
	s_cselect_b32 s26, s30, s27
	s_add_u32 s27, s7, 1
	s_addc_u32 s30, s28, 0
	s_add_u32 s31, s7, 2
	s_addc_u32 s33, s28, 0
	s_cmp_lg_u32 s26, 0
	s_cselect_b32 s26, s31, s27
	s_cselect_b32 s27, s33, s30
	s_cmp_lg_u64 s[24:25], 0
	s_subb_u32 s23, s23, s29
	s_cmp_ge_u32 s23, s17
	s_cselect_b32 s24, -1, 0
	s_cmp_ge_u32 s22, s16
	s_cselect_b32 s16, -1, 0
	s_cmp_eq_u32 s23, s17
	s_cselect_b32 s16, s16, s24
	s_cmp_lg_u32 s16, 0
	s_cselect_b32 s17, s27, s28
	s_cselect_b32 s16, s26, s7
	s_xor_b64 s[2:3], s[20:21], s[2:3]
	s_xor_b64 s[16:17], s[16:17], s[2:3]
	s_sub_u32 s16, s16, s2
	s_subb_u32 s17, s17, s3
	s_load_dwordx2 s[2:3], s[4:5], 0x10
	s_cbranch_execnz .LBB25_4
.LBB25_3:
	v_cvt_f32_u32_e32 v1, s14
	s_sub_i32 s7, 0, s14
	s_mov_b32 s17, 0
	v_rcp_iflag_f32_e32 v1, v1
	v_mul_f32_e32 v1, 0x4f7ffffe, v1
	v_cvt_u32_f32_e32 v1, v1
	v_readfirstlane_b32 s16, v1
	s_mul_i32 s7, s7, s16
	s_mul_hi_u32 s7, s16, s7
	s_add_i32 s16, s16, s7
	s_mul_hi_u32 s7, s0, s16
	s_mul_i32 s18, s7, s14
	s_sub_i32 s18, s0, s18
	s_add_i32 s16, s7, 1
	s_sub_i32 s19, s18, s14
	s_cmp_ge_u32 s18, s14
	s_cselect_b32 s7, s16, s7
	s_cselect_b32 s18, s19, s18
	s_add_i32 s16, s7, 1
	s_cmp_ge_u32 s18, s14
	s_cselect_b32 s16, s16, s7
.LBB25_4:
	s_mul_i32 s7, s16, s15
	s_mul_hi_u32 s15, s16, s14
	s_load_dwordx2 s[18:19], s[4:5], 0x8
	s_load_dwordx2 s[20:21], s[4:5], 0x40
	s_add_i32 s7, s15, s7
	s_mul_i32 s15, s17, s14
	s_add_i32 s7, s7, s15
	s_mul_i32 s14, s16, s14
	s_sub_u32 s33, s0, s14
	s_subb_u32 s41, s1, s7
	v_cmp_gt_i32_e32 vcc, s12, v0
	s_mul_hi_u32 s42, s16, s8
	s_mul_i32 s43, s17, s8
	s_mul_i32 s17, s16, s8
	s_mul_hi_u32 s40, s33, s9
	s_mul_i32 s41, s41, s9
	s_mul_i32 s7, s33, s9
	s_and_saveexec_b64 s[14:15], vcc
	s_cbranch_execz .LBB25_27
; %bb.5:
	s_ashr_i32 s22, s10, 31
	s_mul_hi_u32 s23, s10, s6
	s_mul_i32 s22, s22, s6
	s_add_i32 s23, s23, s22
	s_mul_i32 s22, s10, s6
	s_ashr_i32 s10, s8, 31
	s_mul_i32 s10, s16, s10
	s_load_dwordx2 s[0:1], s[4:5], 0x0
	s_load_dword s26, s[4:5], 0x54
	s_add_i32 s10, s42, s10
	s_add_i32 s24, s10, s43
	s_ashr_i32 s10, s9, 31
	s_mul_i32 s10, s33, s10
	s_add_i32 s10, s40, s10
	s_add_i32 s25, s10, s41
	s_lshl_b64 s[22:23], s[22:23], 1
	s_waitcnt lgkmcnt(0)
	s_add_u32 s10, s0, s22
	s_addc_u32 s0, s1, s23
	s_load_dword s44, s[20:21], 0x0
	s_add_u32 s1, s2, s17
	s_addc_u32 s22, s3, s24
	s_add_u32 s45, s1, s7
	s_addc_u32 s46, s22, s25
	s_and_b32 s47, s26, 0xffff
	s_mov_b64 s[22:23], 0
	v_mov_b32_e32 v8, s0
	v_mov_b32_e32 v2, 0
	s_mov_b64 s[24:25], 0x7f800000
	s_movk_i32 s48, 0x80
	s_mov_b64 s[26:27], 0x43e00001
	s_movk_i32 s49, 0x7a
	s_mov_b64 s[28:29], 0xffffff
	s_movk_i32 s50, 0x7f
	v_mov_b32_e32 v9, 0x78
	v_mov_b32_e32 v10, 0xffffff82
	;; [unrolled: 1-line block ×3, first 2 shown]
	s_branch .LBB25_7
.LBB25_6:                               ;   in Loop: Header=BB25_7 Depth=1
	s_or_b64 exec, exec, s[0:1]
	v_mov_b32_e32 v6, s46
	v_add_co_u32_e32 v5, vcc, s45, v3
	v_addc_co_u32_e32 v6, vcc, v6, v4, vcc
	v_add_u32_e32 v3, s47, v3
	v_cmp_le_i32_e32 vcc, s12, v3
	s_or_b64 s[22:23], vcc, s[22:23]
	global_store_byte v[5:6], v1, off
	s_andn2_b64 exec, exec, s[22:23]
	s_cbranch_execz .LBB25_27
.LBB25_7:                               ; =>This Inner Loop Header: Depth=1
	v_ashrrev_i32_e32 v4, 31, v3
	v_lshlrev_b64 v[5:6], 1, v[3:4]
	v_add_co_u32_e32 v5, vcc, s10, v5
	v_addc_co_u32_e32 v6, vcc, v8, v6, vcc
	global_load_ushort v1, v[5:6], off
	s_waitcnt vmcnt(0)
	v_lshlrev_b32_e32 v1, 16, v1
	s_waitcnt lgkmcnt(0)
	v_div_scale_f32 v5, s[0:1], s44, s44, v1
	v_div_scale_f32 v6, vcc, v1, s44, v1
	v_rcp_f32_e32 v7, v5
	v_fma_f32 v11, -v5, v7, 1.0
	v_fmac_f32_e32 v7, v11, v7
	v_mul_f32_e32 v11, v6, v7
	v_fma_f32 v12, -v5, v11, v6
	v_fmac_f32_e32 v11, v12, v7
	v_fma_f32 v5, -v5, v11, v6
	v_div_fmas_f32 v5, v5, v7, v11
	v_div_fixup_f32 v5, v5, s44, v1
	v_and_b32_e32 v1, 0x7f800000, v5
	v_cmp_ne_u64_e32 vcc, s[24:25], v[1:2]
                                        ; implicit-def: $vgpr1
	s_and_saveexec_b64 s[0:1], vcc
	s_xor_b64 s[30:31], exec, s[0:1]
	s_cbranch_execz .LBB25_25
; %bb.8:                                ;   in Loop: Header=BB25_7 Depth=1
	v_and_b32_e32 v1, 0x7fffffff, v5
	v_cmp_gt_u64_e32 vcc, s[26:27], v[1:2]
	v_and_b32_sdwa v11, v5, s48 dst_sel:DWORD dst_unused:UNUSED_PAD src0_sel:BYTE_3 src1_sel:DWORD
                                        ; implicit-def: $vgpr1
	s_and_saveexec_b64 s[0:1], vcc
	s_xor_b64 s[34:35], exec, s[0:1]
	s_cbranch_execz .LBB25_22
; %bb.9:                                ;   in Loop: Header=BB25_7 Depth=1
	v_cmp_ne_u32_e32 vcc, 0, v5
	v_mov_b32_e32 v1, 0
	s_and_saveexec_b64 s[36:37], vcc
	s_cbranch_execz .LBB25_21
; %bb.10:                               ;   in Loop: Header=BB25_7 Depth=1
	v_bfe_u32 v12, v5, 23, 8
	v_and_b32_e32 v1, 0x7fffff, v5
	v_sub_u32_e32 v5, 0x79, v12
	v_cmp_gt_u32_e32 vcc, s49, v12
	v_cndmask_b32_e32 v5, 0, v5, vcc
	v_cmp_eq_u32_e32 vcc, 0, v12
	v_cndmask_b32_e32 v13, v5, v9, vcc
	v_add_u32_e32 v5, 20, v13
	v_or_b32_e32 v7, 0x800000, v1
	v_lshlrev_b64 v[5:6], v5, -1
	v_cndmask_b32_e32 v1, v7, v1, vcc
	v_bfi_b32 v14, v5, 0, v1
	v_add_u32_e32 v5, 19, v13
	v_bfi_b32 v15, v6, 0, 0
	v_lshlrev_b64 v[16:17], v5, 1
	v_lshrrev_b64 v[5:6], v13, v[1:2]
	v_cmp_eq_u64_e64 s[0:1], v[14:15], v[16:17]
	v_mov_b32_e32 v7, v6
	v_mov_b32_e32 v6, v5
	s_and_saveexec_b64 s[38:39], s[0:1]
; %bb.11:                               ;   in Loop: Header=BB25_7 Depth=1
	v_bfe_u32 v1, v5, 20, 1
	v_add_co_u32_e64 v1, s[0:1], v5, v1
	v_add_co_u32_e64 v6, s[0:1], -1, v1
; %bb.12:                               ;   in Loop: Header=BB25_7 Depth=1
	s_or_b64 exec, exec, s[38:39]
	v_add_u32_e32 v1, 0xffffff81, v12
	v_cndmask_b32_e32 v1, v1, v10, vcc
	v_lshrrev_b32_e32 v7, 23, v5
	v_add3_u32 v13, v13, v1, v7
	v_add_u32_e32 v12, 6, v13
	v_and_b32_e32 v1, 0xfffff, v6
	v_add_u32_e32 v1, v1, v5
	v_cmp_ne_u32_e32 vcc, 0, v12
                                        ; implicit-def: $vgpr5_vgpr6
                                        ; implicit-def: $vgpr7
	s_and_saveexec_b64 s[0:1], vcc
	s_xor_b64 s[0:1], exec, s[0:1]
; %bb.13:                               ;   in Loop: Header=BB25_7 Depth=1
	v_cmp_lt_u64_e32 vcc, s[28:29], v[1:2]
	v_add_u32_e32 v5, 7, v13
	v_cndmask_b32_e32 v7, v12, v5, vcc
	v_cndmask_b32_e64 v5, 0, 1, vcc
	v_lshrrev_b64 v[5:6], v5, v[1:2]
; %bb.14:                               ;   in Loop: Header=BB25_7 Depth=1
	s_andn2_saveexec_b64 s[0:1], s[0:1]
; %bb.15:                               ;   in Loop: Header=BB25_7 Depth=1
	v_mov_b32_e32 v6, v2
	v_bfe_u32 v7, v1, 23, 1
	v_mov_b32_e32 v5, v1
; %bb.16:                               ;   in Loop: Header=BB25_7 Depth=1
	s_or_b64 exec, exec, s[0:1]
	v_lshrrev_b64 v[5:6], 20, v[5:6]
	v_cmp_gt_i32_e32 vcc, 16, v7
	v_cndmask_b32_e32 v6, 0, v6, vcc
	v_cndmask_b32_e32 v5, 7, v5, vcc
	v_cmp_ne_u64_e32 vcc, 0, v[5:6]
	v_cmp_ne_u32_e64 s[0:1], 0, v7
	s_or_b64 s[0:1], s[0:1], vcc
                                        ; implicit-def: $vgpr1
	s_and_saveexec_b64 s[38:39], s[0:1]
	s_xor_b64 s[0:1], exec, s[38:39]
; %bb.17:                               ;   in Loop: Header=BB25_7 Depth=1
	v_min_i32_e32 v1, 15, v7
	v_lshl_or_b32 v1, v1, 3, v11
	v_and_or_b32 v1, v5, 7, v1
                                        ; implicit-def: $vgpr11
; %bb.18:                               ;   in Loop: Header=BB25_7 Depth=1
	s_andn2_saveexec_b64 s[0:1], s[0:1]
; %bb.19:                               ;   in Loop: Header=BB25_7 Depth=1
	v_mov_b32_e32 v1, v11
; %bb.20:                               ;   in Loop: Header=BB25_7 Depth=1
	s_or_b64 exec, exec, s[0:1]
.LBB25_21:                              ;   in Loop: Header=BB25_7 Depth=1
	s_or_b64 exec, exec, s[36:37]
                                        ; implicit-def: $vgpr11
.LBB25_22:                              ;   in Loop: Header=BB25_7 Depth=1
	s_andn2_saveexec_b64 s[0:1], s[34:35]
; %bb.23:                               ;   in Loop: Header=BB25_7 Depth=1
	v_or_b32_e32 v1, 0x7e, v11
; %bb.24:                               ;   in Loop: Header=BB25_7 Depth=1
	s_or_b64 exec, exec, s[0:1]
                                        ; implicit-def: $vgpr5
.LBB25_25:                              ;   in Loop: Header=BB25_7 Depth=1
	s_andn2_saveexec_b64 s[0:1], s[30:31]
	s_cbranch_execz .LBB25_6
; %bb.26:                               ;   in Loop: Header=BB25_7 Depth=1
	v_or_b32_sdwa v1, v5, s50 dst_sel:DWORD dst_unused:UNUSED_PAD src0_sel:BYTE_3 src1_sel:DWORD
	s_branch .LBB25_6
.LBB25_27:
	s_or_b64 exec, exec, s[14:15]
	v_cmp_gt_i32_e32 vcc, s13, v0
	s_and_saveexec_b64 s[0:1], vcc
	s_cbranch_execz .LBB25_50
; %bb.28:
	s_ashr_i32 s0, s11, 31
	s_mul_hi_u32 s1, s11, s6
	s_mul_i32 s0, s0, s6
	s_add_i32 s1, s1, s0
	s_mul_i32 s0, s11, s6
	s_ashr_i32 s6, s8, 31
	s_ashr_i32 s8, s9, 31
	s_mul_i32 s6, s16, s6
	s_mul_i32 s33, s33, s8
	s_add_i32 s6, s42, s6
	s_add_i32 s8, s40, s33
	;; [unrolled: 1-line block ×4, first 2 shown]
	s_ashr_i32 s9, s12, 31
	s_lshl_b64 s[0:1], s[0:1], 1
	s_waitcnt lgkmcnt(0)
	s_add_u32 s22, s18, s0
	s_addc_u32 s0, s19, s1
	s_add_u32 s1, s2, s17
	s_addc_u32 s2, s3, s6
	s_load_dword s3, s[4:5], 0x54
	s_add_u32 s1, s1, s7
	s_load_dword s20, s[20:21], 0x0
	s_addc_u32 s2, s2, s8
	s_add_u32 s12, s1, s12
	s_addc_u32 s21, s2, s9
	s_waitcnt lgkmcnt(0)
	s_and_b32 s23, s3, 0xffff
	s_mov_b64 s[2:3], 0
	v_mov_b32_e32 v7, s0
	v_mov_b32_e32 v3, 0
	s_mov_b64 s[4:5], 0x7f800000
	s_movk_i32 s24, 0x80
	s_mov_b64 s[6:7], 0x43e00001
	s_movk_i32 s25, 0x7a
	s_mov_b64 s[8:9], 0xffffff
	s_movk_i32 s26, 0x7f
	v_mov_b32_e32 v8, 0x78
	v_mov_b32_e32 v9, 0xffffff82
	s_branch .LBB25_30
.LBB25_29:                              ;   in Loop: Header=BB25_30 Depth=1
	s_or_b64 exec, exec, s[0:1]
	v_mov_b32_e32 v5, s21
	v_add_co_u32_e32 v4, vcc, s12, v0
	v_addc_co_u32_e32 v5, vcc, v5, v1, vcc
	v_add_u32_e32 v0, s23, v0
	v_cmp_le_i32_e32 vcc, s13, v0
	s_or_b64 s[2:3], vcc, s[2:3]
	global_store_byte v[4:5], v2, off
	s_andn2_b64 exec, exec, s[2:3]
	s_cbranch_execz .LBB25_50
.LBB25_30:                              ; =>This Inner Loop Header: Depth=1
	v_ashrrev_i32_e32 v1, 31, v0
	v_lshlrev_b64 v[4:5], 1, v[0:1]
	v_add_co_u32_e32 v4, vcc, s22, v4
	v_addc_co_u32_e32 v5, vcc, v7, v5, vcc
	global_load_ushort v2, v[4:5], off
	s_waitcnt vmcnt(0)
	v_lshlrev_b32_e32 v2, 16, v2
	v_div_scale_f32 v4, s[0:1], s20, s20, v2
	v_div_scale_f32 v5, vcc, v2, s20, v2
	v_rcp_f32_e32 v6, v4
	v_fma_f32 v10, -v4, v6, 1.0
	v_fmac_f32_e32 v6, v10, v6
	v_mul_f32_e32 v10, v5, v6
	v_fma_f32 v11, -v4, v10, v5
	v_fmac_f32_e32 v10, v11, v6
	v_fma_f32 v4, -v4, v10, v5
	v_div_fmas_f32 v4, v4, v6, v10
	v_div_fixup_f32 v4, v4, s20, v2
	v_and_b32_e32 v2, 0x7f800000, v4
	v_cmp_ne_u64_e32 vcc, s[4:5], v[2:3]
                                        ; implicit-def: $vgpr2
	s_and_saveexec_b64 s[0:1], vcc
	s_xor_b64 s[10:11], exec, s[0:1]
	s_cbranch_execz .LBB25_48
; %bb.31:                               ;   in Loop: Header=BB25_30 Depth=1
	v_and_b32_e32 v2, 0x7fffffff, v4
	v_cmp_gt_u64_e32 vcc, s[6:7], v[2:3]
	v_and_b32_sdwa v10, v4, s24 dst_sel:DWORD dst_unused:UNUSED_PAD src0_sel:BYTE_3 src1_sel:DWORD
                                        ; implicit-def: $vgpr2
	s_and_saveexec_b64 s[0:1], vcc
	s_xor_b64 s[14:15], exec, s[0:1]
	s_cbranch_execz .LBB25_45
; %bb.32:                               ;   in Loop: Header=BB25_30 Depth=1
	v_cmp_ne_u32_e32 vcc, 0, v4
	v_mov_b32_e32 v2, 0
	s_and_saveexec_b64 s[16:17], vcc
	s_cbranch_execz .LBB25_44
; %bb.33:                               ;   in Loop: Header=BB25_30 Depth=1
	v_bfe_u32 v11, v4, 23, 8
	v_and_b32_e32 v2, 0x7fffff, v4
	v_sub_u32_e32 v4, 0x79, v11
	v_cmp_gt_u32_e32 vcc, s25, v11
	v_cndmask_b32_e32 v4, 0, v4, vcc
	v_cmp_eq_u32_e32 vcc, 0, v11
	v_cndmask_b32_e32 v12, v4, v8, vcc
	v_add_u32_e32 v4, 20, v12
	v_or_b32_e32 v6, 0x800000, v2
	v_lshlrev_b64 v[4:5], v4, -1
	v_cndmask_b32_e32 v2, v6, v2, vcc
	v_bfi_b32 v13, v4, 0, v2
	v_add_u32_e32 v4, 19, v12
	v_bfi_b32 v14, v5, 0, 0
	v_lshlrev_b64 v[15:16], v4, 1
	v_lshrrev_b64 v[4:5], v12, v[2:3]
	v_cmp_eq_u64_e64 s[0:1], v[13:14], v[15:16]
	v_mov_b32_e32 v6, v5
	v_mov_b32_e32 v5, v4
	s_and_saveexec_b64 s[18:19], s[0:1]
; %bb.34:                               ;   in Loop: Header=BB25_30 Depth=1
	v_bfe_u32 v2, v4, 20, 1
	v_add_co_u32_e64 v2, s[0:1], v4, v2
	v_add_co_u32_e64 v5, s[0:1], -1, v2
; %bb.35:                               ;   in Loop: Header=BB25_30 Depth=1
	s_or_b64 exec, exec, s[18:19]
	v_add_u32_e32 v2, 0xffffff81, v11
	v_cndmask_b32_e32 v2, v2, v9, vcc
	v_lshrrev_b32_e32 v6, 23, v4
	v_add3_u32 v12, v12, v2, v6
	v_add_u32_e32 v11, 6, v12
	v_and_b32_e32 v2, 0xfffff, v5
	v_add_u32_e32 v2, v2, v4
	v_cmp_ne_u32_e32 vcc, 0, v11
                                        ; implicit-def: $vgpr4_vgpr5
                                        ; implicit-def: $vgpr6
	s_and_saveexec_b64 s[0:1], vcc
	s_xor_b64 s[0:1], exec, s[0:1]
; %bb.36:                               ;   in Loop: Header=BB25_30 Depth=1
	v_cmp_lt_u64_e32 vcc, s[8:9], v[2:3]
	v_add_u32_e32 v4, 7, v12
	v_cndmask_b32_e32 v6, v11, v4, vcc
	v_cndmask_b32_e64 v4, 0, 1, vcc
	v_lshrrev_b64 v[4:5], v4, v[2:3]
; %bb.37:                               ;   in Loop: Header=BB25_30 Depth=1
	s_andn2_saveexec_b64 s[0:1], s[0:1]
; %bb.38:                               ;   in Loop: Header=BB25_30 Depth=1
	v_mov_b32_e32 v5, v3
	v_bfe_u32 v6, v2, 23, 1
	v_mov_b32_e32 v4, v2
; %bb.39:                               ;   in Loop: Header=BB25_30 Depth=1
	s_or_b64 exec, exec, s[0:1]
	v_lshrrev_b64 v[4:5], 20, v[4:5]
	v_cmp_gt_i32_e32 vcc, 16, v6
	v_cndmask_b32_e32 v5, 0, v5, vcc
	v_cndmask_b32_e32 v4, 7, v4, vcc
	v_cmp_ne_u64_e32 vcc, 0, v[4:5]
	v_cmp_ne_u32_e64 s[0:1], 0, v6
	s_or_b64 s[0:1], s[0:1], vcc
                                        ; implicit-def: $vgpr2
	s_and_saveexec_b64 s[18:19], s[0:1]
	s_xor_b64 s[0:1], exec, s[18:19]
; %bb.40:                               ;   in Loop: Header=BB25_30 Depth=1
	v_min_i32_e32 v2, 15, v6
	v_lshl_or_b32 v2, v2, 3, v10
	v_and_or_b32 v2, v4, 7, v2
                                        ; implicit-def: $vgpr10
; %bb.41:                               ;   in Loop: Header=BB25_30 Depth=1
	s_andn2_saveexec_b64 s[0:1], s[0:1]
; %bb.42:                               ;   in Loop: Header=BB25_30 Depth=1
	v_mov_b32_e32 v2, v10
; %bb.43:                               ;   in Loop: Header=BB25_30 Depth=1
	s_or_b64 exec, exec, s[0:1]
.LBB25_44:                              ;   in Loop: Header=BB25_30 Depth=1
	s_or_b64 exec, exec, s[16:17]
                                        ; implicit-def: $vgpr10
.LBB25_45:                              ;   in Loop: Header=BB25_30 Depth=1
	s_andn2_saveexec_b64 s[0:1], s[14:15]
; %bb.46:                               ;   in Loop: Header=BB25_30 Depth=1
	v_or_b32_e32 v2, 0x7e, v10
; %bb.47:                               ;   in Loop: Header=BB25_30 Depth=1
	s_or_b64 exec, exec, s[0:1]
                                        ; implicit-def: $vgpr4
.LBB25_48:                              ;   in Loop: Header=BB25_30 Depth=1
	s_andn2_saveexec_b64 s[0:1], s[10:11]
	s_cbranch_execz .LBB25_29
; %bb.49:                               ;   in Loop: Header=BB25_30 Depth=1
	v_or_b32_sdwa v2, v4, s26 dst_sel:DWORD dst_unused:UNUSED_PAD src0_sel:BYTE_3 src1_sel:DWORD
	s_branch .LBB25_29
.LBB25_50:
	s_endpgm
.LBB25_51:
                                        ; implicit-def: $sgpr16_sgpr17
	s_load_dwordx2 s[2:3], s[4:5], 0x10
	s_branch .LBB25_3
	.section	.rodata,"a",@progbits
	.p2align	6, 0x0
	.amdhsa_kernel _ZN4vllm27concat_and_cache_mla_kernelI14__hip_bfloat16hLNS_18Fp8KVCacheDataTypeE1EEEvPKT_S5_PT0_PKliiiiiiiPKf
		.amdhsa_group_segment_fixed_size 0
		.amdhsa_private_segment_fixed_size 0
		.amdhsa_kernarg_size 328
		.amdhsa_user_sgpr_count 6
		.amdhsa_user_sgpr_private_segment_buffer 1
		.amdhsa_user_sgpr_dispatch_ptr 0
		.amdhsa_user_sgpr_queue_ptr 0
		.amdhsa_user_sgpr_kernarg_segment_ptr 1
		.amdhsa_user_sgpr_dispatch_id 0
		.amdhsa_user_sgpr_flat_scratch_init 0
		.amdhsa_user_sgpr_private_segment_size 0
		.amdhsa_uses_dynamic_stack 0
		.amdhsa_system_sgpr_private_segment_wavefront_offset 0
		.amdhsa_system_sgpr_workgroup_id_x 1
		.amdhsa_system_sgpr_workgroup_id_y 0
		.amdhsa_system_sgpr_workgroup_id_z 0
		.amdhsa_system_sgpr_workgroup_info 0
		.amdhsa_system_vgpr_workitem_id 0
		.amdhsa_next_free_vgpr 18
		.amdhsa_next_free_sgpr 51
		.amdhsa_reserve_vcc 1
		.amdhsa_reserve_flat_scratch 0
		.amdhsa_float_round_mode_32 0
		.amdhsa_float_round_mode_16_64 0
		.amdhsa_float_denorm_mode_32 3
		.amdhsa_float_denorm_mode_16_64 3
		.amdhsa_dx10_clamp 1
		.amdhsa_ieee_mode 1
		.amdhsa_fp16_overflow 0
		.amdhsa_exception_fp_ieee_invalid_op 0
		.amdhsa_exception_fp_denorm_src 0
		.amdhsa_exception_fp_ieee_div_zero 0
		.amdhsa_exception_fp_ieee_overflow 0
		.amdhsa_exception_fp_ieee_underflow 0
		.amdhsa_exception_fp_ieee_inexact 0
		.amdhsa_exception_int_div_zero 0
	.end_amdhsa_kernel
	.section	.text._ZN4vllm27concat_and_cache_mla_kernelI14__hip_bfloat16hLNS_18Fp8KVCacheDataTypeE1EEEvPKT_S5_PT0_PKliiiiiiiPKf,"axG",@progbits,_ZN4vllm27concat_and_cache_mla_kernelI14__hip_bfloat16hLNS_18Fp8KVCacheDataTypeE1EEEvPKT_S5_PT0_PKliiiiiiiPKf,comdat
.Lfunc_end25:
	.size	_ZN4vllm27concat_and_cache_mla_kernelI14__hip_bfloat16hLNS_18Fp8KVCacheDataTypeE1EEEvPKT_S5_PT0_PKliiiiiiiPKf, .Lfunc_end25-_ZN4vllm27concat_and_cache_mla_kernelI14__hip_bfloat16hLNS_18Fp8KVCacheDataTypeE1EEEvPKT_S5_PT0_PKliiiiiiiPKf
                                        ; -- End function
	.set _ZN4vllm27concat_and_cache_mla_kernelI14__hip_bfloat16hLNS_18Fp8KVCacheDataTypeE1EEEvPKT_S5_PT0_PKliiiiiiiPKf.num_vgpr, 18
	.set _ZN4vllm27concat_and_cache_mla_kernelI14__hip_bfloat16hLNS_18Fp8KVCacheDataTypeE1EEEvPKT_S5_PT0_PKliiiiiiiPKf.num_agpr, 0
	.set _ZN4vllm27concat_and_cache_mla_kernelI14__hip_bfloat16hLNS_18Fp8KVCacheDataTypeE1EEEvPKT_S5_PT0_PKliiiiiiiPKf.numbered_sgpr, 51
	.set _ZN4vllm27concat_and_cache_mla_kernelI14__hip_bfloat16hLNS_18Fp8KVCacheDataTypeE1EEEvPKT_S5_PT0_PKliiiiiiiPKf.num_named_barrier, 0
	.set _ZN4vllm27concat_and_cache_mla_kernelI14__hip_bfloat16hLNS_18Fp8KVCacheDataTypeE1EEEvPKT_S5_PT0_PKliiiiiiiPKf.private_seg_size, 0
	.set _ZN4vllm27concat_and_cache_mla_kernelI14__hip_bfloat16hLNS_18Fp8KVCacheDataTypeE1EEEvPKT_S5_PT0_PKliiiiiiiPKf.uses_vcc, 1
	.set _ZN4vllm27concat_and_cache_mla_kernelI14__hip_bfloat16hLNS_18Fp8KVCacheDataTypeE1EEEvPKT_S5_PT0_PKliiiiiiiPKf.uses_flat_scratch, 0
	.set _ZN4vllm27concat_and_cache_mla_kernelI14__hip_bfloat16hLNS_18Fp8KVCacheDataTypeE1EEEvPKT_S5_PT0_PKliiiiiiiPKf.has_dyn_sized_stack, 0
	.set _ZN4vllm27concat_and_cache_mla_kernelI14__hip_bfloat16hLNS_18Fp8KVCacheDataTypeE1EEEvPKT_S5_PT0_PKliiiiiiiPKf.has_recursion, 0
	.set _ZN4vllm27concat_and_cache_mla_kernelI14__hip_bfloat16hLNS_18Fp8KVCacheDataTypeE1EEEvPKT_S5_PT0_PKliiiiiiiPKf.has_indirect_call, 0
	.section	.AMDGPU.csdata,"",@progbits
; Kernel info:
; codeLenInByte = 2412
; TotalNumSgprs: 55
; NumVgprs: 18
; ScratchSize: 0
; MemoryBound: 0
; FloatMode: 240
; IeeeMode: 1
; LDSByteSize: 0 bytes/workgroup (compile time only)
; SGPRBlocks: 6
; VGPRBlocks: 4
; NumSGPRsForWavesPerEU: 55
; NumVGPRsForWavesPerEU: 18
; Occupancy: 10
; WaveLimiterHint : 1
; COMPUTE_PGM_RSRC2:SCRATCH_EN: 0
; COMPUTE_PGM_RSRC2:USER_SGPR: 6
; COMPUTE_PGM_RSRC2:TRAP_HANDLER: 0
; COMPUTE_PGM_RSRC2:TGID_X_EN: 1
; COMPUTE_PGM_RSRC2:TGID_Y_EN: 0
; COMPUTE_PGM_RSRC2:TGID_Z_EN: 0
; COMPUTE_PGM_RSRC2:TIDIG_COMP_CNT: 0
	.text
	.p2align	2                               ; -- Begin function __ockl_fprintf_append_string_n
	.type	__ockl_fprintf_append_string_n,@function
__ockl_fprintf_append_string_n:         ; @__ockl_fprintf_append_string_n
; %bb.0:
	s_waitcnt vmcnt(0) expcnt(0) lgkmcnt(0)
	v_or_b32_e32 v2, 2, v0
	v_cmp_eq_u32_e32 vcc, 0, v6
	s_getpc_b64 s[4:5]
	s_add_u32 s4, s4, .str@rel32@lo+4
	s_addc_u32 s5, s5, .str@rel32@hi+12
	s_mov_b32 s20, 0
	v_cndmask_b32_e32 v36, v2, v0, vcc
	s_mov_b64 s[6:7], 0
	s_cmp_lg_u64 s[4:5], 0
	v_mbcnt_lo_u32_b32 v37, -1, 0
	s_cbranch_scc0 .LBB26_112
; %bb.1:
	s_load_dwordx2 s[10:11], s[8:9], 0x50
	s_getpc_b64 s[4:5]
	s_add_u32 s4, s4, .str@rel32@lo+4
	s_addc_u32 s5, s5, .str@rel32@hi+12
	v_and_b32_e32 v0, -3, v36
	v_mov_b32_e32 v31, s5
	v_mov_b32_e32 v11, v1
	v_and_b32_e32 v38, 2, v36
	v_mov_b32_e32 v3, 0
	v_mbcnt_hi_u32_b32 v39, -1, v37
	v_mov_b32_e32 v30, s4
	s_movk_i32 s21, 0x1e0
	v_mov_b32_e32 v8, 2
	v_mov_b32_e32 v9, 1
	;; [unrolled: 1-line block ×3, first 2 shown]
	s_branch .LBB26_3
.LBB26_2:                               ;   in Loop: Header=BB26_3 Depth=1
	s_or_b64 exec, exec, s[14:15]
	v_sub_co_u32_e32 v4, vcc, v4, v32
	v_subb_co_u32_e32 v5, vcc, v5, v33, vcc
	v_cmp_eq_u64_e32 vcc, 0, v[4:5]
	s_or_b64 s[6:7], vcc, s[6:7]
	v_add_co_u32_e32 v30, vcc, v30, v32
	v_addc_co_u32_e32 v31, vcc, v31, v33, vcc
	s_andn2_b64 exec, exec, s[6:7]
	s_cbranch_execz .LBB26_85
.LBB26_3:                               ; =>This Loop Header: Depth=1
                                        ;     Child Loop BB26_6 Depth 2
                                        ;     Child Loop BB26_14 Depth 2
	;; [unrolled: 1-line block ×11, first 2 shown]
	v_cmp_gt_u64_e32 vcc, 56, v[4:5]
	v_add_co_u32_e64 v16, s[4:5], 8, v30
	v_cndmask_b32_e32 v33, 0, v5, vcc
	v_cndmask_b32_e32 v32, 56, v4, vcc
	v_cmp_gt_u64_e32 vcc, 8, v[4:5]
	v_addc_co_u32_e64 v17, s[4:5], 0, v31, s[4:5]
	s_and_saveexec_b64 s[4:5], vcc
	s_xor_b64 s[4:5], exec, s[4:5]
	s_cbranch_execz .LBB26_9
; %bb.4:                                ;   in Loop: Header=BB26_3 Depth=1
	s_waitcnt vmcnt(0)
	v_mov_b32_e32 v12, 0
	v_cmp_ne_u64_e32 vcc, 0, v[4:5]
	v_mov_b32_e32 v13, 0
	s_and_saveexec_b64 s[12:13], vcc
	s_cbranch_execz .LBB26_8
; %bb.5:                                ;   in Loop: Header=BB26_3 Depth=1
	v_lshlrev_b64 v[6:7], 3, v[32:33]
	v_mov_b32_e32 v12, 0
	v_mov_b32_e32 v14, v30
	s_mov_b64 s[14:15], 0
	v_mov_b32_e32 v13, 0
	v_mov_b32_e32 v15, v31
	s_mov_b64 s[16:17], 0
.LBB26_6:                               ;   Parent Loop BB26_3 Depth=1
                                        ; =>  This Inner Loop Header: Depth=2
	global_load_ubyte v0, v[14:15], off
	v_mov_b32_e32 v17, s20
	v_add_co_u32_e32 v14, vcc, 1, v14
	v_addc_co_u32_e32 v15, vcc, 0, v15, vcc
	s_waitcnt vmcnt(0)
	v_and_b32_e32 v16, 0xffff, v0
	v_lshlrev_b64 v[16:17], s16, v[16:17]
	s_add_u32 s16, s16, 8
	s_addc_u32 s17, s17, 0
	v_cmp_eq_u32_e32 vcc, s16, v6
	v_or_b32_e32 v13, v17, v13
	s_or_b64 s[14:15], vcc, s[14:15]
	v_or_b32_e32 v12, v16, v12
	s_andn2_b64 exec, exec, s[14:15]
	s_cbranch_execnz .LBB26_6
; %bb.7:                                ;   in Loop: Header=BB26_3 Depth=1
	s_or_b64 exec, exec, s[14:15]
.LBB26_8:                               ;   in Loop: Header=BB26_3 Depth=1
	s_or_b64 exec, exec, s[12:13]
	v_mov_b32_e32 v16, v30
	v_mov_b32_e32 v17, v31
.LBB26_9:                               ;   in Loop: Header=BB26_3 Depth=1
	s_or_saveexec_b64 s[4:5], s[4:5]
	v_mov_b32_e32 v0, 0
	s_xor_b64 exec, exec, s[4:5]
	s_cbranch_execz .LBB26_11
; %bb.10:                               ;   in Loop: Header=BB26_3 Depth=1
	global_load_dwordx2 v[12:13], v[30:31], off
	v_add_u32_e32 v0, -8, v32
.LBB26_11:                              ;   in Loop: Header=BB26_3 Depth=1
	s_or_b64 exec, exec, s[4:5]
	v_add_co_u32_e64 v6, s[4:5], 8, v16
	v_cmp_gt_u32_e32 vcc, 8, v0
	v_addc_co_u32_e64 v7, s[4:5], 0, v17, s[4:5]
                                        ; implicit-def: $vgpr14_vgpr15
	s_and_saveexec_b64 s[4:5], vcc
	s_xor_b64 s[4:5], exec, s[4:5]
	s_cbranch_execz .LBB26_17
; %bb.12:                               ;   in Loop: Header=BB26_3 Depth=1
	v_mov_b32_e32 v14, 0
	v_mov_b32_e32 v15, 0
	v_cmp_ne_u32_e32 vcc, 0, v0
	s_and_saveexec_b64 s[12:13], vcc
	s_cbranch_execz .LBB26_16
; %bb.13:                               ;   in Loop: Header=BB26_3 Depth=1
	v_mov_b32_e32 v14, 0
	s_mov_b64 s[14:15], 0
	v_mov_b32_e32 v15, 0
	s_mov_b64 s[16:17], 0
	s_mov_b64 s[18:19], 0
.LBB26_14:                              ;   Parent Loop BB26_3 Depth=1
                                        ; =>  This Inner Loop Header: Depth=2
	v_mov_b32_e32 v2, s19
	v_add_co_u32_e32 v6, vcc, s18, v16
	v_addc_co_u32_e32 v7, vcc, v17, v2, vcc
	global_load_ubyte v2, v[6:7], off
	s_add_u32 s18, s18, 1
	v_mov_b32_e32 v7, s20
	s_addc_u32 s19, s19, 0
	v_cmp_eq_u32_e32 vcc, s18, v0
	s_waitcnt vmcnt(0)
	v_and_b32_e32 v6, 0xffff, v2
	v_lshlrev_b64 v[6:7], s16, v[6:7]
	s_add_u32 s16, s16, 8
	s_addc_u32 s17, s17, 0
	v_or_b32_e32 v15, v7, v15
	s_or_b64 s[14:15], vcc, s[14:15]
	v_or_b32_e32 v14, v6, v14
	s_andn2_b64 exec, exec, s[14:15]
	s_cbranch_execnz .LBB26_14
; %bb.15:                               ;   in Loop: Header=BB26_3 Depth=1
	s_or_b64 exec, exec, s[14:15]
.LBB26_16:                              ;   in Loop: Header=BB26_3 Depth=1
	s_or_b64 exec, exec, s[12:13]
	v_mov_b32_e32 v6, v16
	v_mov_b32_e32 v7, v17
                                        ; implicit-def: $vgpr0
.LBB26_17:                              ;   in Loop: Header=BB26_3 Depth=1
	s_or_saveexec_b64 s[4:5], s[4:5]
	v_mov_b32_e32 v2, 0
	s_xor_b64 exec, exec, s[4:5]
	s_cbranch_execz .LBB26_19
; %bb.18:                               ;   in Loop: Header=BB26_3 Depth=1
	global_load_dwordx2 v[14:15], v[16:17], off
	v_add_u32_e32 v2, -8, v0
.LBB26_19:                              ;   in Loop: Header=BB26_3 Depth=1
	s_or_b64 exec, exec, s[4:5]
	v_add_co_u32_e64 v20, s[4:5], 8, v6
	v_cmp_gt_u32_e32 vcc, 8, v2
	v_addc_co_u32_e64 v21, s[4:5], 0, v7, s[4:5]
	s_and_saveexec_b64 s[4:5], vcc
	s_xor_b64 s[4:5], exec, s[4:5]
	s_cbranch_execz .LBB26_25
; %bb.20:                               ;   in Loop: Header=BB26_3 Depth=1
	v_mov_b32_e32 v16, 0
	v_mov_b32_e32 v17, 0
	v_cmp_ne_u32_e32 vcc, 0, v2
	s_and_saveexec_b64 s[12:13], vcc
	s_cbranch_execz .LBB26_24
; %bb.21:                               ;   in Loop: Header=BB26_3 Depth=1
	v_mov_b32_e32 v16, 0
	s_mov_b64 s[14:15], 0
	v_mov_b32_e32 v17, 0
	s_mov_b64 s[16:17], 0
	s_mov_b64 s[18:19], 0
.LBB26_22:                              ;   Parent Loop BB26_3 Depth=1
                                        ; =>  This Inner Loop Header: Depth=2
	v_mov_b32_e32 v0, s19
	v_add_co_u32_e32 v18, vcc, s18, v6
	v_addc_co_u32_e32 v19, vcc, v7, v0, vcc
	global_load_ubyte v0, v[18:19], off
	s_add_u32 s18, s18, 1
	v_mov_b32_e32 v19, s20
	s_addc_u32 s19, s19, 0
	v_cmp_eq_u32_e32 vcc, s18, v2
	s_waitcnt vmcnt(0)
	v_and_b32_e32 v18, 0xffff, v0
	v_lshlrev_b64 v[18:19], s16, v[18:19]
	s_add_u32 s16, s16, 8
	s_addc_u32 s17, s17, 0
	v_or_b32_e32 v17, v19, v17
	s_or_b64 s[14:15], vcc, s[14:15]
	v_or_b32_e32 v16, v18, v16
	s_andn2_b64 exec, exec, s[14:15]
	s_cbranch_execnz .LBB26_22
; %bb.23:                               ;   in Loop: Header=BB26_3 Depth=1
	s_or_b64 exec, exec, s[14:15]
.LBB26_24:                              ;   in Loop: Header=BB26_3 Depth=1
	s_or_b64 exec, exec, s[12:13]
	v_mov_b32_e32 v21, v7
	v_mov_b32_e32 v20, v6
                                        ; implicit-def: $vgpr2
.LBB26_25:                              ;   in Loop: Header=BB26_3 Depth=1
	s_or_saveexec_b64 s[4:5], s[4:5]
	v_mov_b32_e32 v0, 0
	s_xor_b64 exec, exec, s[4:5]
	s_cbranch_execz .LBB26_27
; %bb.26:                               ;   in Loop: Header=BB26_3 Depth=1
	global_load_dwordx2 v[16:17], v[6:7], off
	v_add_u32_e32 v0, -8, v2
.LBB26_27:                              ;   in Loop: Header=BB26_3 Depth=1
	s_or_b64 exec, exec, s[4:5]
	v_add_co_u32_e64 v6, s[4:5], 8, v20
	v_cmp_gt_u32_e32 vcc, 8, v0
	v_addc_co_u32_e64 v7, s[4:5], 0, v21, s[4:5]
                                        ; implicit-def: $vgpr18_vgpr19
	s_and_saveexec_b64 s[4:5], vcc
	s_xor_b64 s[4:5], exec, s[4:5]
	s_cbranch_execz .LBB26_33
; %bb.28:                               ;   in Loop: Header=BB26_3 Depth=1
	v_mov_b32_e32 v18, 0
	v_mov_b32_e32 v19, 0
	v_cmp_ne_u32_e32 vcc, 0, v0
	s_and_saveexec_b64 s[12:13], vcc
	s_cbranch_execz .LBB26_32
; %bb.29:                               ;   in Loop: Header=BB26_3 Depth=1
	v_mov_b32_e32 v18, 0
	s_mov_b64 s[14:15], 0
	v_mov_b32_e32 v19, 0
	s_mov_b64 s[16:17], 0
	s_mov_b64 s[18:19], 0
.LBB26_30:                              ;   Parent Loop BB26_3 Depth=1
                                        ; =>  This Inner Loop Header: Depth=2
	v_mov_b32_e32 v2, s19
	v_add_co_u32_e32 v6, vcc, s18, v20
	v_addc_co_u32_e32 v7, vcc, v21, v2, vcc
	global_load_ubyte v2, v[6:7], off
	s_add_u32 s18, s18, 1
	v_mov_b32_e32 v7, s20
	s_addc_u32 s19, s19, 0
	v_cmp_eq_u32_e32 vcc, s18, v0
	s_waitcnt vmcnt(0)
	v_and_b32_e32 v6, 0xffff, v2
	v_lshlrev_b64 v[6:7], s16, v[6:7]
	s_add_u32 s16, s16, 8
	s_addc_u32 s17, s17, 0
	v_or_b32_e32 v19, v7, v19
	s_or_b64 s[14:15], vcc, s[14:15]
	v_or_b32_e32 v18, v6, v18
	s_andn2_b64 exec, exec, s[14:15]
	s_cbranch_execnz .LBB26_30
; %bb.31:                               ;   in Loop: Header=BB26_3 Depth=1
	s_or_b64 exec, exec, s[14:15]
.LBB26_32:                              ;   in Loop: Header=BB26_3 Depth=1
	s_or_b64 exec, exec, s[12:13]
	v_mov_b32_e32 v6, v20
	v_mov_b32_e32 v7, v21
                                        ; implicit-def: $vgpr0
.LBB26_33:                              ;   in Loop: Header=BB26_3 Depth=1
	s_or_saveexec_b64 s[4:5], s[4:5]
	v_mov_b32_e32 v2, 0
	s_xor_b64 exec, exec, s[4:5]
	s_cbranch_execz .LBB26_35
; %bb.34:                               ;   in Loop: Header=BB26_3 Depth=1
	global_load_dwordx2 v[18:19], v[20:21], off
	v_add_u32_e32 v2, -8, v0
.LBB26_35:                              ;   in Loop: Header=BB26_3 Depth=1
	s_or_b64 exec, exec, s[4:5]
	v_add_co_u32_e64 v24, s[4:5], 8, v6
	v_cmp_gt_u32_e32 vcc, 8, v2
	v_addc_co_u32_e64 v25, s[4:5], 0, v7, s[4:5]
	s_and_saveexec_b64 s[4:5], vcc
	s_xor_b64 s[4:5], exec, s[4:5]
	s_cbranch_execz .LBB26_41
; %bb.36:                               ;   in Loop: Header=BB26_3 Depth=1
	v_mov_b32_e32 v20, 0
	v_mov_b32_e32 v21, 0
	v_cmp_ne_u32_e32 vcc, 0, v2
	s_and_saveexec_b64 s[12:13], vcc
	s_cbranch_execz .LBB26_40
; %bb.37:                               ;   in Loop: Header=BB26_3 Depth=1
	v_mov_b32_e32 v20, 0
	s_mov_b64 s[14:15], 0
	v_mov_b32_e32 v21, 0
	s_mov_b64 s[16:17], 0
	s_mov_b64 s[18:19], 0
.LBB26_38:                              ;   Parent Loop BB26_3 Depth=1
                                        ; =>  This Inner Loop Header: Depth=2
	v_mov_b32_e32 v0, s19
	v_add_co_u32_e32 v22, vcc, s18, v6
	v_addc_co_u32_e32 v23, vcc, v7, v0, vcc
	global_load_ubyte v0, v[22:23], off
	s_add_u32 s18, s18, 1
	v_mov_b32_e32 v23, s20
	s_addc_u32 s19, s19, 0
	v_cmp_eq_u32_e32 vcc, s18, v2
	s_waitcnt vmcnt(0)
	v_and_b32_e32 v22, 0xffff, v0
	v_lshlrev_b64 v[22:23], s16, v[22:23]
	s_add_u32 s16, s16, 8
	s_addc_u32 s17, s17, 0
	v_or_b32_e32 v21, v23, v21
	s_or_b64 s[14:15], vcc, s[14:15]
	v_or_b32_e32 v20, v22, v20
	s_andn2_b64 exec, exec, s[14:15]
	s_cbranch_execnz .LBB26_38
; %bb.39:                               ;   in Loop: Header=BB26_3 Depth=1
	s_or_b64 exec, exec, s[14:15]
.LBB26_40:                              ;   in Loop: Header=BB26_3 Depth=1
	s_or_b64 exec, exec, s[12:13]
	v_mov_b32_e32 v25, v7
	v_mov_b32_e32 v24, v6
                                        ; implicit-def: $vgpr2
.LBB26_41:                              ;   in Loop: Header=BB26_3 Depth=1
	s_or_saveexec_b64 s[4:5], s[4:5]
	v_mov_b32_e32 v0, 0
	s_xor_b64 exec, exec, s[4:5]
	s_cbranch_execz .LBB26_43
; %bb.42:                               ;   in Loop: Header=BB26_3 Depth=1
	global_load_dwordx2 v[20:21], v[6:7], off
	v_add_u32_e32 v0, -8, v2
.LBB26_43:                              ;   in Loop: Header=BB26_3 Depth=1
	s_or_b64 exec, exec, s[4:5]
	v_add_co_u32_e64 v6, s[4:5], 8, v24
	v_cmp_gt_u32_e32 vcc, 8, v0
	v_addc_co_u32_e64 v7, s[4:5], 0, v25, s[4:5]
                                        ; implicit-def: $vgpr22_vgpr23
	s_and_saveexec_b64 s[4:5], vcc
	s_xor_b64 s[4:5], exec, s[4:5]
	s_cbranch_execz .LBB26_49
; %bb.44:                               ;   in Loop: Header=BB26_3 Depth=1
	v_mov_b32_e32 v22, 0
	v_mov_b32_e32 v23, 0
	v_cmp_ne_u32_e32 vcc, 0, v0
	s_and_saveexec_b64 s[12:13], vcc
	s_cbranch_execz .LBB26_48
; %bb.45:                               ;   in Loop: Header=BB26_3 Depth=1
	v_mov_b32_e32 v22, 0
	s_mov_b64 s[14:15], 0
	v_mov_b32_e32 v23, 0
	s_mov_b64 s[16:17], 0
	s_mov_b64 s[18:19], 0
.LBB26_46:                              ;   Parent Loop BB26_3 Depth=1
                                        ; =>  This Inner Loop Header: Depth=2
	v_mov_b32_e32 v2, s19
	v_add_co_u32_e32 v6, vcc, s18, v24
	v_addc_co_u32_e32 v7, vcc, v25, v2, vcc
	global_load_ubyte v2, v[6:7], off
	s_add_u32 s18, s18, 1
	v_mov_b32_e32 v7, s20
	s_addc_u32 s19, s19, 0
	v_cmp_eq_u32_e32 vcc, s18, v0
	s_waitcnt vmcnt(0)
	v_and_b32_e32 v6, 0xffff, v2
	v_lshlrev_b64 v[6:7], s16, v[6:7]
	s_add_u32 s16, s16, 8
	s_addc_u32 s17, s17, 0
	v_or_b32_e32 v23, v7, v23
	s_or_b64 s[14:15], vcc, s[14:15]
	v_or_b32_e32 v22, v6, v22
	s_andn2_b64 exec, exec, s[14:15]
	s_cbranch_execnz .LBB26_46
; %bb.47:                               ;   in Loop: Header=BB26_3 Depth=1
	s_or_b64 exec, exec, s[14:15]
.LBB26_48:                              ;   in Loop: Header=BB26_3 Depth=1
	s_or_b64 exec, exec, s[12:13]
	v_mov_b32_e32 v6, v24
	v_mov_b32_e32 v7, v25
                                        ; implicit-def: $vgpr0
.LBB26_49:                              ;   in Loop: Header=BB26_3 Depth=1
	s_or_saveexec_b64 s[4:5], s[4:5]
	v_mov_b32_e32 v2, 0
	s_xor_b64 exec, exec, s[4:5]
	s_cbranch_execz .LBB26_51
; %bb.50:                               ;   in Loop: Header=BB26_3 Depth=1
	global_load_dwordx2 v[22:23], v[24:25], off
	v_add_u32_e32 v2, -8, v0
.LBB26_51:                              ;   in Loop: Header=BB26_3 Depth=1
	s_or_b64 exec, exec, s[4:5]
	v_cmp_gt_u32_e32 vcc, 8, v2
	s_and_saveexec_b64 s[4:5], vcc
	s_xor_b64 s[4:5], exec, s[4:5]
	s_cbranch_execz .LBB26_57
; %bb.52:                               ;   in Loop: Header=BB26_3 Depth=1
	v_mov_b32_e32 v24, 0
	v_mov_b32_e32 v25, 0
	v_cmp_ne_u32_e32 vcc, 0, v2
	s_and_saveexec_b64 s[12:13], vcc
	s_cbranch_execz .LBB26_56
; %bb.53:                               ;   in Loop: Header=BB26_3 Depth=1
	v_mov_b32_e32 v24, 0
	s_mov_b64 s[14:15], 0
	v_mov_b32_e32 v25, 0
	s_mov_b64 s[16:17], 0
.LBB26_54:                              ;   Parent Loop BB26_3 Depth=1
                                        ; =>  This Inner Loop Header: Depth=2
	global_load_ubyte v0, v[6:7], off
	v_mov_b32_e32 v27, s20
	v_add_co_u32_e32 v6, vcc, 1, v6
	v_add_u32_e32 v2, -1, v2
	v_addc_co_u32_e32 v7, vcc, 0, v7, vcc
	v_cmp_eq_u32_e32 vcc, 0, v2
	s_waitcnt vmcnt(0)
	v_and_b32_e32 v26, 0xffff, v0
	v_lshlrev_b64 v[26:27], s16, v[26:27]
	s_add_u32 s16, s16, 8
	s_addc_u32 s17, s17, 0
	v_or_b32_e32 v25, v27, v25
	s_or_b64 s[14:15], vcc, s[14:15]
	v_or_b32_e32 v24, v26, v24
	s_andn2_b64 exec, exec, s[14:15]
	s_cbranch_execnz .LBB26_54
; %bb.55:                               ;   in Loop: Header=BB26_3 Depth=1
	s_or_b64 exec, exec, s[14:15]
.LBB26_56:                              ;   in Loop: Header=BB26_3 Depth=1
	s_or_b64 exec, exec, s[12:13]
                                        ; implicit-def: $vgpr6_vgpr7
.LBB26_57:                              ;   in Loop: Header=BB26_3 Depth=1
	s_andn2_saveexec_b64 s[4:5], s[4:5]
	s_cbranch_execz .LBB26_59
; %bb.58:                               ;   in Loop: Header=BB26_3 Depth=1
	global_load_dwordx2 v[24:25], v[6:7], off
.LBB26_59:                              ;   in Loop: Header=BB26_3 Depth=1
	s_or_b64 exec, exec, s[4:5]
	v_readfirstlane_b32 s4, v39
	v_mov_b32_e32 v6, 0
	v_mov_b32_e32 v7, 0
	v_cmp_eq_u32_e64 s[4:5], s4, v39
	s_and_saveexec_b64 s[12:13], s[4:5]
	s_cbranch_execz .LBB26_65
; %bb.60:                               ;   in Loop: Header=BB26_3 Depth=1
	s_waitcnt lgkmcnt(0)
	global_load_dwordx2 v[28:29], v3, s[10:11] offset:24 glc
	s_waitcnt vmcnt(0)
	buffer_wbinvl1_vol
	global_load_dwordx2 v[6:7], v3, s[10:11] offset:40
	global_load_dwordx2 v[26:27], v3, s[10:11]
	s_waitcnt vmcnt(1)
	v_and_b32_e32 v0, v6, v28
	v_and_b32_e32 v2, v7, v29
	v_mul_lo_u32 v2, v2, 24
	v_mul_hi_u32 v6, v0, 24
	v_mul_lo_u32 v0, v0, 24
	v_add_u32_e32 v2, v6, v2
	s_waitcnt vmcnt(0)
	v_add_co_u32_e32 v6, vcc, v26, v0
	v_addc_co_u32_e32 v7, vcc, v27, v2, vcc
	global_load_dwordx2 v[26:27], v[6:7], off glc
	s_waitcnt vmcnt(0)
	global_atomic_cmpswap_x2 v[6:7], v3, v[26:29], s[10:11] offset:24 glc
	s_waitcnt vmcnt(0)
	buffer_wbinvl1_vol
	v_cmp_ne_u64_e32 vcc, v[6:7], v[28:29]
	s_and_saveexec_b64 s[14:15], vcc
	s_cbranch_execz .LBB26_64
; %bb.61:                               ;   in Loop: Header=BB26_3 Depth=1
	s_mov_b64 s[16:17], 0
.LBB26_62:                              ;   Parent Loop BB26_3 Depth=1
                                        ; =>  This Inner Loop Header: Depth=2
	s_sleep 1
	global_load_dwordx2 v[26:27], v3, s[10:11] offset:40
	global_load_dwordx2 v[34:35], v3, s[10:11]
	v_mov_b32_e32 v29, v7
	v_mov_b32_e32 v28, v6
	s_waitcnt vmcnt(1)
	v_and_b32_e32 v0, v26, v28
	s_waitcnt vmcnt(0)
	v_mad_u64_u32 v[6:7], s[18:19], v0, 24, v[34:35]
	v_and_b32_e32 v2, v27, v29
	v_mov_b32_e32 v0, v7
	v_mad_u64_u32 v[26:27], s[18:19], v2, 24, v[0:1]
	v_mov_b32_e32 v7, v26
	global_load_dwordx2 v[26:27], v[6:7], off glc
	s_waitcnt vmcnt(0)
	global_atomic_cmpswap_x2 v[6:7], v3, v[26:29], s[10:11] offset:24 glc
	s_waitcnt vmcnt(0)
	buffer_wbinvl1_vol
	v_cmp_eq_u64_e32 vcc, v[6:7], v[28:29]
	s_or_b64 s[16:17], vcc, s[16:17]
	s_andn2_b64 exec, exec, s[16:17]
	s_cbranch_execnz .LBB26_62
; %bb.63:                               ;   in Loop: Header=BB26_3 Depth=1
	s_or_b64 exec, exec, s[16:17]
.LBB26_64:                              ;   in Loop: Header=BB26_3 Depth=1
	s_or_b64 exec, exec, s[14:15]
.LBB26_65:                              ;   in Loop: Header=BB26_3 Depth=1
	s_or_b64 exec, exec, s[12:13]
	s_waitcnt lgkmcnt(0)
	global_load_dwordx2 v[34:35], v3, s[10:11] offset:40
	global_load_dwordx4 v[26:29], v3, s[10:11]
	v_readfirstlane_b32 s13, v7
	v_readfirstlane_b32 s12, v6
	s_mov_b64 s[14:15], exec
	s_waitcnt vmcnt(1)
	v_readfirstlane_b32 s16, v34
	v_readfirstlane_b32 s17, v35
	s_and_b64 s[16:17], s[16:17], s[12:13]
	s_mul_i32 s18, s17, 24
	s_mul_hi_u32 s19, s16, 24
	s_mul_i32 s22, s16, 24
	s_add_i32 s18, s19, s18
	v_mov_b32_e32 v0, s18
	s_waitcnt vmcnt(0)
	v_add_co_u32_e32 v34, vcc, s22, v26
	v_addc_co_u32_e32 v35, vcc, v27, v0, vcc
	s_and_saveexec_b64 s[18:19], s[4:5]
	s_cbranch_execz .LBB26_67
; %bb.66:                               ;   in Loop: Header=BB26_3 Depth=1
	v_mov_b32_e32 v6, s14
	v_mov_b32_e32 v7, s15
	global_store_dwordx4 v[34:35], v[6:9], off offset:8
.LBB26_67:                              ;   in Loop: Header=BB26_3 Depth=1
	s_or_b64 exec, exec, s[18:19]
	s_lshl_b64 s[14:15], s[16:17], 12
	v_mov_b32_e32 v2, s15
	v_add_co_u32_e32 v0, vcc, s14, v28
	v_addc_co_u32_e32 v28, vcc, v29, v2, vcc
	v_cmp_gt_u64_e32 vcc, 57, v[4:5]
	v_and_b32_e32 v7, 0xffffff1f, v10
	v_cndmask_b32_e32 v2, 0, v38, vcc
	v_lshl_add_u32 v6, v32, 2, 28
	v_or_b32_e32 v2, v7, v2
	v_and_or_b32 v10, v6, s21, v2
	v_lshlrev_b32_e32 v29, 6, v39
	v_readfirstlane_b32 s14, v0
	v_readfirstlane_b32 s15, v28
	s_nop 4
	global_store_dwordx4 v29, v[10:13], s[14:15]
	global_store_dwordx4 v29, v[14:17], s[14:15] offset:16
	global_store_dwordx4 v29, v[18:21], s[14:15] offset:32
	;; [unrolled: 1-line block ×3, first 2 shown]
	s_and_saveexec_b64 s[14:15], s[4:5]
	s_cbranch_execz .LBB26_75
; %bb.68:                               ;   in Loop: Header=BB26_3 Depth=1
	global_load_dwordx2 v[14:15], v3, s[10:11] offset:32 glc
	global_load_dwordx2 v[6:7], v3, s[10:11] offset:40
	v_mov_b32_e32 v12, s12
	v_mov_b32_e32 v13, s13
	s_waitcnt vmcnt(0)
	v_readfirstlane_b32 s16, v6
	v_readfirstlane_b32 s17, v7
	s_and_b64 s[16:17], s[16:17], s[12:13]
	s_mul_i32 s17, s17, 24
	s_mul_hi_u32 s18, s16, 24
	s_mul_i32 s16, s16, 24
	s_add_i32 s17, s18, s17
	v_mov_b32_e32 v2, s17
	v_add_co_u32_e32 v6, vcc, s16, v26
	v_addc_co_u32_e32 v7, vcc, v27, v2, vcc
	global_store_dwordx2 v[6:7], v[14:15], off
	s_waitcnt vmcnt(0)
	global_atomic_cmpswap_x2 v[12:13], v3, v[12:15], s[10:11] offset:32 glc
	s_waitcnt vmcnt(0)
	v_cmp_ne_u64_e32 vcc, v[12:13], v[14:15]
	s_and_saveexec_b64 s[16:17], vcc
	s_cbranch_execz .LBB26_71
; %bb.69:                               ;   in Loop: Header=BB26_3 Depth=1
	s_mov_b64 s[18:19], 0
.LBB26_70:                              ;   Parent Loop BB26_3 Depth=1
                                        ; =>  This Inner Loop Header: Depth=2
	s_sleep 1
	global_store_dwordx2 v[6:7], v[12:13], off
	v_mov_b32_e32 v10, s12
	v_mov_b32_e32 v11, s13
	s_waitcnt vmcnt(0)
	global_atomic_cmpswap_x2 v[10:11], v3, v[10:13], s[10:11] offset:32 glc
	s_waitcnt vmcnt(0)
	v_cmp_eq_u64_e32 vcc, v[10:11], v[12:13]
	v_mov_b32_e32 v13, v11
	s_or_b64 s[18:19], vcc, s[18:19]
	v_mov_b32_e32 v12, v10
	s_andn2_b64 exec, exec, s[18:19]
	s_cbranch_execnz .LBB26_70
.LBB26_71:                              ;   in Loop: Header=BB26_3 Depth=1
	s_or_b64 exec, exec, s[16:17]
	global_load_dwordx2 v[6:7], v3, s[10:11] offset:16
	s_mov_b64 s[18:19], exec
	v_mbcnt_lo_u32_b32 v2, s18, 0
	v_mbcnt_hi_u32_b32 v2, s19, v2
	v_cmp_eq_u32_e32 vcc, 0, v2
	s_and_saveexec_b64 s[16:17], vcc
	s_cbranch_execz .LBB26_73
; %bb.72:                               ;   in Loop: Header=BB26_3 Depth=1
	s_bcnt1_i32_b64 s18, s[18:19]
	v_mov_b32_e32 v2, s18
	s_waitcnt vmcnt(0)
	global_atomic_add_x2 v[6:7], v[2:3], off offset:8
.LBB26_73:                              ;   in Loop: Header=BB26_3 Depth=1
	s_or_b64 exec, exec, s[16:17]
	s_waitcnt vmcnt(0)
	global_load_dwordx2 v[10:11], v[6:7], off offset:16
	s_waitcnt vmcnt(0)
	v_cmp_eq_u64_e32 vcc, 0, v[10:11]
	s_cbranch_vccnz .LBB26_75
; %bb.74:                               ;   in Loop: Header=BB26_3 Depth=1
	global_load_dword v2, v[6:7], off offset:24
	s_waitcnt vmcnt(0)
	v_readfirstlane_b32 s16, v2
	s_and_b32 m0, s16, 0xffffff
	global_store_dwordx2 v[10:11], v[2:3], off
	s_sendmsg sendmsg(MSG_INTERRUPT)
.LBB26_75:                              ;   in Loop: Header=BB26_3 Depth=1
	s_or_b64 exec, exec, s[14:15]
	v_add_co_u32_e32 v6, vcc, v0, v29
	v_addc_co_u32_e32 v7, vcc, 0, v28, vcc
	s_branch .LBB26_79
.LBB26_76:                              ;   in Loop: Header=BB26_79 Depth=2
	s_or_b64 exec, exec, s[14:15]
	v_readfirstlane_b32 s14, v0
	s_cmp_eq_u32 s14, 0
	s_cbranch_scc1 .LBB26_78
; %bb.77:                               ;   in Loop: Header=BB26_79 Depth=2
	s_sleep 1
	s_cbranch_execnz .LBB26_79
	s_branch .LBB26_81
.LBB26_78:                              ;   in Loop: Header=BB26_3 Depth=1
	s_branch .LBB26_81
.LBB26_79:                              ;   Parent Loop BB26_3 Depth=1
                                        ; =>  This Inner Loop Header: Depth=2
	v_mov_b32_e32 v0, 1
	s_and_saveexec_b64 s[14:15], s[4:5]
	s_cbranch_execz .LBB26_76
; %bb.80:                               ;   in Loop: Header=BB26_79 Depth=2
	global_load_dword v0, v[34:35], off offset:20 glc
	s_waitcnt vmcnt(0)
	buffer_wbinvl1_vol
	v_and_b32_e32 v0, 1, v0
	s_branch .LBB26_76
.LBB26_81:                              ;   in Loop: Header=BB26_3 Depth=1
	global_load_dwordx4 v[10:13], v[6:7], off
	s_and_saveexec_b64 s[14:15], s[4:5]
	s_cbranch_execz .LBB26_2
; %bb.82:                               ;   in Loop: Header=BB26_3 Depth=1
	global_load_dwordx2 v[6:7], v3, s[10:11] offset:40
	global_load_dwordx2 v[16:17], v3, s[10:11] offset:24 glc
	global_load_dwordx2 v[12:13], v3, s[10:11]
	s_waitcnt vmcnt(2)
	v_readfirstlane_b32 s16, v6
	v_readfirstlane_b32 s17, v7
	s_add_u32 s18, s16, 1
	s_addc_u32 s19, s17, 0
	s_add_u32 s4, s18, s12
	s_addc_u32 s5, s19, s13
	s_cmp_eq_u64 s[4:5], 0
	s_cselect_b32 s5, s19, s5
	s_cselect_b32 s4, s18, s4
	s_and_b64 s[12:13], s[4:5], s[16:17]
	s_mul_i32 s13, s13, 24
	s_mul_hi_u32 s16, s12, 24
	s_mul_i32 s12, s12, 24
	s_add_i32 s13, s16, s13
	v_mov_b32_e32 v0, s13
	s_waitcnt vmcnt(0)
	v_add_co_u32_e32 v6, vcc, s12, v12
	v_addc_co_u32_e32 v7, vcc, v13, v0, vcc
	v_mov_b32_e32 v14, s4
	global_store_dwordx2 v[6:7], v[16:17], off
	v_mov_b32_e32 v15, s5
	s_waitcnt vmcnt(0)
	global_atomic_cmpswap_x2 v[14:15], v3, v[14:17], s[10:11] offset:24 glc
	s_waitcnt vmcnt(0)
	v_cmp_ne_u64_e32 vcc, v[14:15], v[16:17]
	s_and_b64 exec, exec, vcc
	s_cbranch_execz .LBB26_2
; %bb.83:                               ;   in Loop: Header=BB26_3 Depth=1
	s_mov_b64 s[12:13], 0
.LBB26_84:                              ;   Parent Loop BB26_3 Depth=1
                                        ; =>  This Inner Loop Header: Depth=2
	s_sleep 1
	global_store_dwordx2 v[6:7], v[14:15], off
	v_mov_b32_e32 v12, s4
	v_mov_b32_e32 v13, s5
	s_waitcnt vmcnt(0)
	global_atomic_cmpswap_x2 v[12:13], v3, v[12:15], s[10:11] offset:24 glc
	s_waitcnt vmcnt(0)
	v_cmp_eq_u64_e32 vcc, v[12:13], v[14:15]
	v_mov_b32_e32 v15, v13
	s_or_b64 s[12:13], vcc, s[12:13]
	v_mov_b32_e32 v14, v12
	s_andn2_b64 exec, exec, s[12:13]
	s_cbranch_execnz .LBB26_84
	s_branch .LBB26_2
.LBB26_85:
	s_or_b64 exec, exec, s[6:7]
	s_branch .LBB26_113
.LBB26_86:
	s_load_dwordx2 s[6:7], s[8:9], 0x50
	v_mbcnt_hi_u32_b32 v3, -1, v37
	v_readfirstlane_b32 s4, v3
	v_mov_b32_e32 v8, 0
	v_mov_b32_e32 v9, 0
	v_cmp_eq_u32_e64 s[4:5], s4, v3
	s_and_saveexec_b64 s[8:9], s[4:5]
	s_cbranch_execz .LBB26_92
; %bb.87:
	v_mov_b32_e32 v0, 0
	s_waitcnt lgkmcnt(0)
	global_load_dwordx2 v[6:7], v0, s[6:7] offset:24 glc
	s_waitcnt vmcnt(0)
	buffer_wbinvl1_vol
	global_load_dwordx2 v[4:5], v0, s[6:7] offset:40
	global_load_dwordx2 v[8:9], v0, s[6:7]
	s_waitcnt vmcnt(1)
	v_and_b32_e32 v2, v4, v6
	v_and_b32_e32 v4, v5, v7
	v_mul_lo_u32 v4, v4, 24
	v_mul_hi_u32 v5, v2, 24
	v_mul_lo_u32 v2, v2, 24
	v_add_u32_e32 v5, v5, v4
	s_waitcnt vmcnt(0)
	v_add_co_u32_e32 v4, vcc, v8, v2
	v_addc_co_u32_e32 v5, vcc, v9, v5, vcc
	global_load_dwordx2 v[4:5], v[4:5], off glc
	s_waitcnt vmcnt(0)
	global_atomic_cmpswap_x2 v[8:9], v0, v[4:7], s[6:7] offset:24 glc
	s_waitcnt vmcnt(0)
	buffer_wbinvl1_vol
	v_cmp_ne_u64_e32 vcc, v[8:9], v[6:7]
	s_and_saveexec_b64 s[10:11], vcc
	s_cbranch_execz .LBB26_91
; %bb.88:
	s_mov_b64 s[12:13], 0
.LBB26_89:                              ; =>This Inner Loop Header: Depth=1
	s_sleep 1
	global_load_dwordx2 v[4:5], v0, s[6:7] offset:40
	global_load_dwordx2 v[10:11], v0, s[6:7]
	v_mov_b32_e32 v6, v8
	v_mov_b32_e32 v7, v9
	s_waitcnt vmcnt(1)
	v_and_b32_e32 v2, v4, v6
	s_waitcnt vmcnt(0)
	v_mad_u64_u32 v[8:9], s[14:15], v2, 24, v[10:11]
	v_and_b32_e32 v4, v5, v7
	v_mov_b32_e32 v2, v9
	v_mad_u64_u32 v[4:5], s[14:15], v4, 24, v[2:3]
	v_mov_b32_e32 v9, v4
	global_load_dwordx2 v[4:5], v[8:9], off glc
	s_waitcnt vmcnt(0)
	global_atomic_cmpswap_x2 v[8:9], v0, v[4:7], s[6:7] offset:24 glc
	s_waitcnt vmcnt(0)
	buffer_wbinvl1_vol
	v_cmp_eq_u64_e32 vcc, v[8:9], v[6:7]
	s_or_b64 s[12:13], vcc, s[12:13]
	s_andn2_b64 exec, exec, s[12:13]
	s_cbranch_execnz .LBB26_89
; %bb.90:
	s_or_b64 exec, exec, s[12:13]
.LBB26_91:
	s_or_b64 exec, exec, s[10:11]
.LBB26_92:
	s_or_b64 exec, exec, s[8:9]
	v_mov_b32_e32 v2, 0
	s_waitcnt lgkmcnt(0)
	global_load_dwordx2 v[10:11], v2, s[6:7] offset:40
	global_load_dwordx4 v[4:7], v2, s[6:7]
	v_readfirstlane_b32 s9, v9
	v_readfirstlane_b32 s8, v8
	s_mov_b64 s[10:11], exec
	s_waitcnt vmcnt(1)
	v_readfirstlane_b32 s12, v10
	v_readfirstlane_b32 s13, v11
	s_and_b64 s[12:13], s[12:13], s[8:9]
	s_mul_i32 s14, s13, 24
	s_mul_hi_u32 s15, s12, 24
	s_mul_i32 s16, s12, 24
	s_add_i32 s14, s15, s14
	v_mov_b32_e32 v0, s14
	s_waitcnt vmcnt(0)
	v_add_co_u32_e32 v8, vcc, s16, v4
	v_addc_co_u32_e32 v9, vcc, v5, v0, vcc
	s_and_saveexec_b64 s[14:15], s[4:5]
	s_cbranch_execz .LBB26_94
; %bb.93:
	v_mov_b32_e32 v10, s10
	v_mov_b32_e32 v11, s11
	;; [unrolled: 1-line block ×4, first 2 shown]
	global_store_dwordx4 v[8:9], v[10:13], off offset:8
.LBB26_94:
	s_or_b64 exec, exec, s[14:15]
	s_lshl_b64 s[10:11], s[12:13], 12
	v_mov_b32_e32 v0, s11
	v_add_co_u32_e32 v6, vcc, s10, v6
	v_addc_co_u32_e32 v7, vcc, v7, v0, vcc
	s_movk_i32 s10, 0xff1f
	v_and_or_b32 v0, v36, s10, 32
	v_lshlrev_b32_e32 v10, 6, v3
	s_mov_b32 s12, 0
	v_mov_b32_e32 v3, v2
	v_readfirstlane_b32 s10, v6
	v_readfirstlane_b32 s11, v7
	s_mov_b32 s13, s12
	s_mov_b32 s14, s12
	;; [unrolled: 1-line block ×3, first 2 shown]
	s_nop 1
	global_store_dwordx4 v10, v[0:3], s[10:11]
	s_nop 0
	v_mov_b32_e32 v0, s12
	v_mov_b32_e32 v1, s13
	;; [unrolled: 1-line block ×4, first 2 shown]
	global_store_dwordx4 v10, v[0:3], s[10:11] offset:16
	global_store_dwordx4 v10, v[0:3], s[10:11] offset:32
	;; [unrolled: 1-line block ×3, first 2 shown]
	s_and_saveexec_b64 s[10:11], s[4:5]
	s_cbranch_execz .LBB26_102
; %bb.95:
	v_mov_b32_e32 v6, 0
	global_load_dwordx2 v[12:13], v6, s[6:7] offset:32 glc
	global_load_dwordx2 v[0:1], v6, s[6:7] offset:40
	v_mov_b32_e32 v10, s8
	v_mov_b32_e32 v11, s9
	s_waitcnt vmcnt(0)
	v_and_b32_e32 v0, s8, v0
	v_and_b32_e32 v1, s9, v1
	v_mul_lo_u32 v1, v1, 24
	v_mul_hi_u32 v2, v0, 24
	v_mul_lo_u32 v0, v0, 24
	v_add_u32_e32 v1, v2, v1
	v_add_co_u32_e32 v4, vcc, v4, v0
	v_addc_co_u32_e32 v5, vcc, v5, v1, vcc
	global_store_dwordx2 v[4:5], v[12:13], off
	s_waitcnt vmcnt(0)
	global_atomic_cmpswap_x2 v[2:3], v6, v[10:13], s[6:7] offset:32 glc
	s_waitcnt vmcnt(0)
	v_cmp_ne_u64_e32 vcc, v[2:3], v[12:13]
	s_and_saveexec_b64 s[12:13], vcc
	s_cbranch_execz .LBB26_98
; %bb.96:
	s_mov_b64 s[14:15], 0
.LBB26_97:                              ; =>This Inner Loop Header: Depth=1
	s_sleep 1
	global_store_dwordx2 v[4:5], v[2:3], off
	v_mov_b32_e32 v0, s8
	v_mov_b32_e32 v1, s9
	s_waitcnt vmcnt(0)
	global_atomic_cmpswap_x2 v[0:1], v6, v[0:3], s[6:7] offset:32 glc
	s_waitcnt vmcnt(0)
	v_cmp_eq_u64_e32 vcc, v[0:1], v[2:3]
	v_mov_b32_e32 v3, v1
	s_or_b64 s[14:15], vcc, s[14:15]
	v_mov_b32_e32 v2, v0
	s_andn2_b64 exec, exec, s[14:15]
	s_cbranch_execnz .LBB26_97
.LBB26_98:
	s_or_b64 exec, exec, s[12:13]
	v_mov_b32_e32 v3, 0
	global_load_dwordx2 v[0:1], v3, s[6:7] offset:16
	s_mov_b64 s[12:13], exec
	v_mbcnt_lo_u32_b32 v2, s12, 0
	v_mbcnt_hi_u32_b32 v2, s13, v2
	v_cmp_eq_u32_e32 vcc, 0, v2
	s_and_saveexec_b64 s[14:15], vcc
	s_cbranch_execz .LBB26_100
; %bb.99:
	s_bcnt1_i32_b64 s12, s[12:13]
	v_mov_b32_e32 v2, s12
	s_waitcnt vmcnt(0)
	global_atomic_add_x2 v[0:1], v[2:3], off offset:8
.LBB26_100:
	s_or_b64 exec, exec, s[14:15]
	s_waitcnt vmcnt(0)
	global_load_dwordx2 v[2:3], v[0:1], off offset:16
	s_waitcnt vmcnt(0)
	v_cmp_eq_u64_e32 vcc, 0, v[2:3]
	s_cbranch_vccnz .LBB26_102
; %bb.101:
	global_load_dword v0, v[0:1], off offset:24
	v_mov_b32_e32 v1, 0
	s_waitcnt vmcnt(0)
	v_readfirstlane_b32 s12, v0
	s_and_b32 m0, s12, 0xffffff
	global_store_dwordx2 v[2:3], v[0:1], off
	s_sendmsg sendmsg(MSG_INTERRUPT)
.LBB26_102:
	s_or_b64 exec, exec, s[10:11]
	s_branch .LBB26_106
.LBB26_103:                             ;   in Loop: Header=BB26_106 Depth=1
	s_or_b64 exec, exec, s[10:11]
	v_readfirstlane_b32 s10, v0
	s_cmp_eq_u32 s10, 0
	s_cbranch_scc1 .LBB26_105
; %bb.104:                              ;   in Loop: Header=BB26_106 Depth=1
	s_sleep 1
	s_cbranch_execnz .LBB26_106
	s_branch .LBB26_108
.LBB26_105:
	s_branch .LBB26_108
.LBB26_106:                             ; =>This Inner Loop Header: Depth=1
	v_mov_b32_e32 v0, 1
	s_and_saveexec_b64 s[10:11], s[4:5]
	s_cbranch_execz .LBB26_103
; %bb.107:                              ;   in Loop: Header=BB26_106 Depth=1
	global_load_dword v0, v[8:9], off offset:20 glc
	s_waitcnt vmcnt(0)
	buffer_wbinvl1_vol
	v_and_b32_e32 v0, 1, v0
	s_branch .LBB26_103
.LBB26_108:
	s_and_saveexec_b64 s[10:11], s[4:5]
	s_cbranch_execz .LBB26_111
; %bb.109:
	v_mov_b32_e32 v6, 0
	global_load_dwordx2 v[0:1], v6, s[6:7] offset:40
	global_load_dwordx2 v[9:10], v6, s[6:7] offset:24 glc
	global_load_dwordx2 v[2:3], v6, s[6:7]
	s_waitcnt vmcnt(2)
	v_readfirstlane_b32 s12, v0
	v_readfirstlane_b32 s13, v1
	s_add_u32 s14, s12, 1
	s_addc_u32 s15, s13, 0
	s_add_u32 s4, s14, s8
	s_addc_u32 s5, s15, s9
	s_cmp_eq_u64 s[4:5], 0
	s_cselect_b32 s5, s15, s5
	s_cselect_b32 s4, s14, s4
	s_and_b64 s[8:9], s[4:5], s[12:13]
	s_mul_i32 s9, s9, 24
	s_mul_hi_u32 s12, s8, 24
	s_mul_i32 s8, s8, 24
	s_add_i32 s9, s12, s9
	v_mov_b32_e32 v0, s9
	s_waitcnt vmcnt(0)
	v_add_co_u32_e32 v4, vcc, s8, v2
	v_addc_co_u32_e32 v5, vcc, v3, v0, vcc
	v_mov_b32_e32 v7, s4
	global_store_dwordx2 v[4:5], v[9:10], off
	v_mov_b32_e32 v8, s5
	s_waitcnt vmcnt(0)
	global_atomic_cmpswap_x2 v[2:3], v6, v[7:10], s[6:7] offset:24 glc
	s_mov_b64 s[8:9], 0
	s_waitcnt vmcnt(0)
	v_cmp_ne_u64_e32 vcc, v[2:3], v[9:10]
	s_and_b64 exec, exec, vcc
	s_cbranch_execz .LBB26_111
.LBB26_110:                             ; =>This Inner Loop Header: Depth=1
	s_sleep 1
	global_store_dwordx2 v[4:5], v[2:3], off
	v_mov_b32_e32 v0, s4
	v_mov_b32_e32 v1, s5
	s_waitcnt vmcnt(0)
	global_atomic_cmpswap_x2 v[0:1], v6, v[0:3], s[6:7] offset:24 glc
	s_waitcnt vmcnt(0)
	v_cmp_eq_u64_e32 vcc, v[0:1], v[2:3]
	v_mov_b32_e32 v3, v1
	s_or_b64 s[8:9], vcc, s[8:9]
	v_mov_b32_e32 v2, v0
	s_andn2_b64 exec, exec, s[8:9]
	s_cbranch_execnz .LBB26_110
.LBB26_111:
	s_or_b64 exec, exec, s[10:11]
	s_waitcnt vmcnt(0) lgkmcnt(0)
	s_setpc_b64 s[30:31]
.LBB26_112:
	s_cbranch_execnz .LBB26_86
.LBB26_113:
	s_waitcnt vmcnt(0) lgkmcnt(0)
	s_setpc_b64 s[30:31]
.Lfunc_end26:
	.size	__ockl_fprintf_append_string_n, .Lfunc_end26-__ockl_fprintf_append_string_n
                                        ; -- End function
	.set .L__ockl_fprintf_append_string_n.num_vgpr, 40
	.set .L__ockl_fprintf_append_string_n.num_agpr, 0
	.set .L__ockl_fprintf_append_string_n.numbered_sgpr, 32
	.set .L__ockl_fprintf_append_string_n.num_named_barrier, 0
	.set .L__ockl_fprintf_append_string_n.private_seg_size, 0
	.set .L__ockl_fprintf_append_string_n.uses_vcc, 1
	.set .L__ockl_fprintf_append_string_n.uses_flat_scratch, 0
	.set .L__ockl_fprintf_append_string_n.has_dyn_sized_stack, 0
	.set .L__ockl_fprintf_append_string_n.has_recursion, 0
	.set .L__ockl_fprintf_append_string_n.has_indirect_call, 0
	.section	.AMDGPU.csdata,"",@progbits
; Function info:
; codeLenInByte = 3900
; TotalNumSgprs: 36
; NumVgprs: 40
; ScratchSize: 0
; MemoryBound: 0
	.text
	.p2align	2                               ; -- Begin function __assert_fail
	.type	__assert_fail,@function
__assert_fail:                          ; @__assert_fail
; %bb.0:
	s_waitcnt vmcnt(0) expcnt(0) lgkmcnt(0)
	s_mov_b32 s25, s33
	s_mov_b32 s33, s32
	s_or_saveexec_b64 s[4:5], -1
	buffer_store_dword v40, off, s[0:3], s33 offset:48 ; 4-byte Folded Spill
	s_mov_b64 exec, s[4:5]
	v_writelane_b32 v40, s30, 0
	s_addk_i32 s32, 0x1000
	v_writelane_b32 v40, s31, 1
	v_mov_b32_e32 v8, 0
	s_getpc_b64 s[4:5]
	s_add_u32 s4, s4, __const.__assert_fail.fmt@rel32@lo+35
	s_addc_u32 s5, s5, __const.__assert_fail.fmt@rel32@hi+43
	v_mov_b32_e32 v5, v1
	v_mov_b32_e32 v4, v0
	global_load_dwordx4 v[0:3], v8, s[4:5]
	s_getpc_b64 s[16:17]
	s_add_u32 s16, s16, __const.__assert_fail.fmt@rel32@lo+4
	s_addc_u32 s17, s17, __const.__assert_fail.fmt@rel32@hi+12
	s_getpc_b64 s[18:19]
	s_add_u32 s18, s18, __const.__assert_fail.fmt@rel32@lo+20
	s_addc_u32 s19, s19, __const.__assert_fail.fmt@rel32@hi+28
	v_mbcnt_lo_u32_b32 v9, -1, 0
	s_load_dwordx4 s[4:7], s[16:17], 0x0
	s_load_dwordx4 s[12:15], s[18:19], 0x0
	s_load_dwordx2 s[10:11], s[8:9], 0x50
	v_mbcnt_hi_u32_b32 v34, -1, v9
	v_mov_b32_e32 v6, 0
	v_readfirstlane_b32 s16, v34
	v_mov_b32_e32 v7, 0
	s_waitcnt lgkmcnt(0)
	v_mov_b32_e32 v9, s7
	v_mov_b32_e32 v11, s5
	;; [unrolled: 1-line block ×3, first 2 shown]
	v_cmp_eq_u32_e64 s[4:5], s16, v34
	v_mov_b32_e32 v10, s6
	v_mov_b32_e32 v13, s15
	v_mov_b32_e32 v14, s14
	v_mov_b32_e32 v15, s13
	v_mov_b32_e32 v16, s12
	buffer_store_dword v9, off, s[0:3], s33 offset:12
	buffer_store_dword v10, off, s[0:3], s33 offset:8
	;; [unrolled: 1-line block ×3, first 2 shown]
	buffer_store_dword v12, off, s[0:3], s33
	buffer_store_dword v13, off, s[0:3], s33 offset:28
	buffer_store_dword v14, off, s[0:3], s33 offset:24
	;; [unrolled: 1-line block ×4, first 2 shown]
	s_waitcnt vmcnt(8)
	buffer_store_dword v3, off, s[0:3], s33 offset:43
	buffer_store_dword v2, off, s[0:3], s33 offset:39
	;; [unrolled: 1-line block ×4, first 2 shown]
	s_and_saveexec_b64 s[6:7], s[4:5]
	s_cbranch_execz .LBB27_6
; %bb.1:
	global_load_dwordx2 v[2:3], v8, s[10:11] offset:24 glc
	s_waitcnt vmcnt(0)
	buffer_wbinvl1_vol
	global_load_dwordx2 v[0:1], v8, s[10:11] offset:40
	global_load_dwordx2 v[6:7], v8, s[10:11]
	s_waitcnt vmcnt(1)
	v_and_b32_e32 v0, v0, v2
	v_and_b32_e32 v1, v1, v3
	v_mul_lo_u32 v1, v1, 24
	v_mul_hi_u32 v9, v0, 24
	v_mul_lo_u32 v0, v0, 24
	v_add_u32_e32 v1, v9, v1
	s_waitcnt vmcnt(0)
	v_add_co_u32_e32 v0, vcc, v6, v0
	v_addc_co_u32_e32 v1, vcc, v7, v1, vcc
	global_load_dwordx2 v[0:1], v[0:1], off glc
	s_waitcnt vmcnt(0)
	global_atomic_cmpswap_x2 v[6:7], v8, v[0:3], s[10:11] offset:24 glc
	s_waitcnt vmcnt(0)
	buffer_wbinvl1_vol
	v_cmp_ne_u64_e32 vcc, v[6:7], v[2:3]
	s_and_saveexec_b64 s[12:13], vcc
	s_cbranch_execz .LBB27_5
; %bb.2:
	s_mov_b64 s[14:15], 0
	v_mov_b32_e32 v0, 0
.LBB27_3:                               ; =>This Inner Loop Header: Depth=1
	s_sleep 1
	global_load_dwordx2 v[1:2], v0, s[10:11] offset:40
	global_load_dwordx2 v[9:10], v0, s[10:11]
	v_mov_b32_e32 v12, v7
	v_mov_b32_e32 v11, v6
	s_waitcnt vmcnt(1)
	v_and_b32_e32 v1, v1, v11
	s_waitcnt vmcnt(0)
	v_mad_u64_u32 v[6:7], s[16:17], v1, 24, v[9:10]
	v_and_b32_e32 v2, v2, v12
	v_mov_b32_e32 v1, v7
	v_mad_u64_u32 v[1:2], s[16:17], v2, 24, v[1:2]
	v_mov_b32_e32 v7, v1
	global_load_dwordx2 v[9:10], v[6:7], off glc
	s_waitcnt vmcnt(0)
	global_atomic_cmpswap_x2 v[6:7], v0, v[9:12], s[10:11] offset:24 glc
	s_waitcnt vmcnt(0)
	buffer_wbinvl1_vol
	v_cmp_eq_u64_e32 vcc, v[6:7], v[11:12]
	s_or_b64 s[14:15], vcc, s[14:15]
	s_andn2_b64 exec, exec, s[14:15]
	s_cbranch_execnz .LBB27_3
; %bb.4:
	s_or_b64 exec, exec, s[14:15]
.LBB27_5:
	s_or_b64 exec, exec, s[12:13]
.LBB27_6:
	s_or_b64 exec, exec, s[6:7]
	global_load_dwordx2 v[9:10], v8, s[10:11] offset:40
	global_load_dwordx4 v[0:3], v8, s[10:11]
	v_readfirstlane_b32 s7, v7
	v_readfirstlane_b32 s6, v6
	s_mov_b64 s[12:13], exec
	s_waitcnt vmcnt(1)
	v_readfirstlane_b32 s14, v9
	v_readfirstlane_b32 s15, v10
	s_and_b64 s[14:15], s[14:15], s[6:7]
	s_mul_i32 s16, s15, 24
	s_mul_hi_u32 s17, s14, 24
	s_mul_i32 s18, s14, 24
	s_add_i32 s16, s17, s16
	v_mov_b32_e32 v6, s16
	s_waitcnt vmcnt(0)
	v_add_co_u32_e32 v10, vcc, s18, v0
	v_addc_co_u32_e32 v11, vcc, v1, v6, vcc
	s_and_saveexec_b64 s[16:17], s[4:5]
	s_cbranch_execz .LBB27_8
; %bb.7:
	v_mov_b32_e32 v6, s12
	v_mov_b32_e32 v7, s13
	;; [unrolled: 1-line block ×4, first 2 shown]
	global_store_dwordx4 v[10:11], v[6:9], off offset:8
.LBB27_8:
	s_or_b64 exec, exec, s[16:17]
	s_lshl_b64 s[12:13], s[14:15], 12
	v_mov_b32_e32 v6, s13
	v_add_co_u32_e32 v2, vcc, s12, v2
	s_mov_b32 s12, 0
	v_addc_co_u32_e32 v3, vcc, v3, v6, vcc
	v_lshlrev_b32_e32 v35, 6, v34
	s_mov_b32 s15, s12
	v_mov_b32_e32 v7, 0
	v_add_co_u32_e32 v12, vcc, v2, v35
	s_mov_b32 s13, s12
	s_mov_b32 s14, s12
	v_mov_b32_e32 v17, s15
	v_addc_co_u32_e32 v13, vcc, 0, v3, vcc
	v_mov_b32_e32 v6, 33
	v_mov_b32_e32 v8, 1
	;; [unrolled: 1-line block ×3, first 2 shown]
	v_readfirstlane_b32 s16, v2
	v_readfirstlane_b32 s17, v3
	v_mov_b32_e32 v16, s14
	v_mov_b32_e32 v15, s13
	;; [unrolled: 1-line block ×3, first 2 shown]
	s_nop 1
	global_store_dwordx4 v35, v[6:9], s[16:17]
	global_store_dwordx4 v35, v[14:17], s[16:17] offset:16
	global_store_dwordx4 v35, v[14:17], s[16:17] offset:32
	;; [unrolled: 1-line block ×3, first 2 shown]
	s_and_saveexec_b64 s[12:13], s[4:5]
	s_cbranch_execz .LBB27_16
; %bb.9:
	global_load_dwordx2 v[16:17], v7, s[10:11] offset:32 glc
	global_load_dwordx2 v[2:3], v7, s[10:11] offset:40
	v_mov_b32_e32 v14, s6
	v_mov_b32_e32 v15, s7
	s_waitcnt vmcnt(0)
	v_and_b32_e32 v2, s6, v2
	v_and_b32_e32 v3, s7, v3
	v_mul_lo_u32 v3, v3, 24
	v_mul_hi_u32 v6, v2, 24
	v_mul_lo_u32 v2, v2, 24
	v_add_u32_e32 v3, v6, v3
	v_add_co_u32_e32 v8, vcc, v0, v2
	v_addc_co_u32_e32 v9, vcc, v1, v3, vcc
	global_store_dwordx2 v[8:9], v[16:17], off
	s_waitcnt vmcnt(0)
	global_atomic_cmpswap_x2 v[2:3], v7, v[14:17], s[10:11] offset:32 glc
	s_waitcnt vmcnt(0)
	v_cmp_ne_u64_e32 vcc, v[2:3], v[16:17]
	s_and_saveexec_b64 s[14:15], vcc
	s_cbranch_execz .LBB27_12
; %bb.10:
	s_mov_b64 s[16:17], 0
	v_mov_b32_e32 v6, 0
.LBB27_11:                              ; =>This Inner Loop Header: Depth=1
	s_sleep 1
	global_store_dwordx2 v[8:9], v[2:3], off
	v_mov_b32_e32 v0, s6
	v_mov_b32_e32 v1, s7
	s_waitcnt vmcnt(0)
	global_atomic_cmpswap_x2 v[0:1], v6, v[0:3], s[10:11] offset:32 glc
	s_waitcnt vmcnt(0)
	v_cmp_eq_u64_e32 vcc, v[0:1], v[2:3]
	v_mov_b32_e32 v3, v1
	s_or_b64 s[16:17], vcc, s[16:17]
	v_mov_b32_e32 v2, v0
	s_andn2_b64 exec, exec, s[16:17]
	s_cbranch_execnz .LBB27_11
.LBB27_12:
	s_or_b64 exec, exec, s[14:15]
	v_mov_b32_e32 v3, 0
	global_load_dwordx2 v[0:1], v3, s[10:11] offset:16
	s_mov_b64 s[14:15], exec
	v_mbcnt_lo_u32_b32 v2, s14, 0
	v_mbcnt_hi_u32_b32 v2, s15, v2
	v_cmp_eq_u32_e32 vcc, 0, v2
	s_and_saveexec_b64 s[16:17], vcc
	s_cbranch_execz .LBB27_14
; %bb.13:
	s_bcnt1_i32_b64 s14, s[14:15]
	v_mov_b32_e32 v2, s14
	s_waitcnt vmcnt(0)
	global_atomic_add_x2 v[0:1], v[2:3], off offset:8
.LBB27_14:
	s_or_b64 exec, exec, s[16:17]
	s_waitcnt vmcnt(0)
	global_load_dwordx2 v[2:3], v[0:1], off offset:16
	s_waitcnt vmcnt(0)
	v_cmp_eq_u64_e32 vcc, 0, v[2:3]
	s_cbranch_vccnz .LBB27_16
; %bb.15:
	global_load_dword v0, v[0:1], off offset:24
	v_mov_b32_e32 v1, 0
	s_waitcnt vmcnt(0)
	v_readfirstlane_b32 s14, v0
	s_and_b32 m0, s14, 0xffffff
	global_store_dwordx2 v[2:3], v[0:1], off
	s_sendmsg sendmsg(MSG_INTERRUPT)
.LBB27_16:
	s_or_b64 exec, exec, s[12:13]
	s_branch .LBB27_20
.LBB27_17:                              ;   in Loop: Header=BB27_20 Depth=1
	s_or_b64 exec, exec, s[12:13]
	v_readfirstlane_b32 s12, v0
	s_cmp_eq_u32 s12, 0
	s_cbranch_scc1 .LBB27_19
; %bb.18:                               ;   in Loop: Header=BB27_20 Depth=1
	s_sleep 1
	s_cbranch_execnz .LBB27_20
	s_branch .LBB27_22
.LBB27_19:
	s_branch .LBB27_22
.LBB27_20:                              ; =>This Inner Loop Header: Depth=1
	v_mov_b32_e32 v0, 1
	s_and_saveexec_b64 s[12:13], s[4:5]
	s_cbranch_execz .LBB27_17
; %bb.21:                               ;   in Loop: Header=BB27_20 Depth=1
	global_load_dword v0, v[10:11], off offset:20 glc
	s_waitcnt vmcnt(0)
	buffer_wbinvl1_vol
	v_and_b32_e32 v0, 1, v0
	s_branch .LBB27_17
.LBB27_22:
	global_load_dwordx2 v[6:7], v[12:13], off
	s_and_saveexec_b64 s[12:13], s[4:5]
	s_cbranch_execz .LBB27_25
; %bb.23:
	v_mov_b32_e32 v10, 0
	global_load_dwordx2 v[0:1], v10, s[10:11] offset:40
	global_load_dwordx2 v[13:14], v10, s[10:11] offset:24 glc
	global_load_dwordx2 v[2:3], v10, s[10:11]
	s_waitcnt vmcnt(2)
	v_readfirstlane_b32 s14, v0
	v_readfirstlane_b32 s15, v1
	s_add_u32 s16, s14, 1
	s_addc_u32 s17, s15, 0
	s_add_u32 s4, s16, s6
	s_addc_u32 s5, s17, s7
	s_cmp_eq_u64 s[4:5], 0
	s_cselect_b32 s5, s17, s5
	s_cselect_b32 s4, s16, s4
	s_and_b64 s[6:7], s[4:5], s[14:15]
	s_mul_i32 s7, s7, 24
	s_mul_hi_u32 s14, s6, 24
	s_mul_i32 s6, s6, 24
	s_add_i32 s7, s14, s7
	v_mov_b32_e32 v0, s7
	s_waitcnt vmcnt(0)
	v_add_co_u32_e32 v8, vcc, s6, v2
	v_addc_co_u32_e32 v9, vcc, v3, v0, vcc
	v_mov_b32_e32 v11, s4
	global_store_dwordx2 v[8:9], v[13:14], off
	v_mov_b32_e32 v12, s5
	s_waitcnt vmcnt(0)
	global_atomic_cmpswap_x2 v[2:3], v10, v[11:14], s[10:11] offset:24 glc
	s_mov_b64 s[6:7], 0
	s_waitcnt vmcnt(0)
	v_cmp_ne_u64_e32 vcc, v[2:3], v[13:14]
	s_and_b64 exec, exec, vcc
	s_cbranch_execz .LBB27_25
.LBB27_24:                              ; =>This Inner Loop Header: Depth=1
	s_sleep 1
	global_store_dwordx2 v[8:9], v[2:3], off
	v_mov_b32_e32 v0, s4
	v_mov_b32_e32 v1, s5
	s_waitcnt vmcnt(0)
	global_atomic_cmpswap_x2 v[0:1], v10, v[0:3], s[10:11] offset:24 glc
	s_waitcnt vmcnt(0)
	v_cmp_eq_u64_e32 vcc, v[0:1], v[2:3]
	v_mov_b32_e32 v3, v1
	s_or_b64 s[6:7], vcc, s[6:7]
	v_mov_b32_e32 v2, v0
	s_andn2_b64 exec, exec, s[6:7]
	s_cbranch_execnz .LBB27_24
.LBB27_25:
	s_or_b64 exec, exec, s[12:13]
	s_lshr_b32 s6, s33, 6
	s_mov_b64 s[4:5], 0
.LBB27_26:                              ; =>This Inner Loop Header: Depth=1
	v_mov_b32_e32 v0, s6
	buffer_load_ubyte v1, v0, s[0:3], 0 offen
	s_add_i32 s6, s6, 1
	v_mov_b32_e32 v0, s6
	s_waitcnt vmcnt(0)
	v_cmp_eq_u16_e32 vcc, 0, v1
	s_or_b64 s[4:5], vcc, s[4:5]
	s_andn2_b64 exec, exec, s[4:5]
	s_cbranch_execnz .LBB27_26
; %bb.27:
	s_or_b64 exec, exec, s[4:5]
	s_lshr_b32 s4, s33, 6
	s_cmp_lg_u32 s4, -1
	s_cbranch_scc0 .LBB27_112
; %bb.28:
	v_lshrrev_b32_e64 v1, 6, s33
	v_subrev_u32_e32 v28, v1, v0
	v_ashrrev_i32_e32 v29, 31, v28
	v_and_b32_e32 v36, 2, v6
	v_mov_b32_e32 v31, 0
	v_and_b32_e32 v0, -3, v6
	v_mov_b32_e32 v1, v7
	s_mov_b64 s[12:13], 0
	v_lshrrev_b32_e64 v37, 6, s33
	s_mov_b32 s20, 0
	s_movk_i32 s21, 0x1e0
	v_mov_b32_e32 v10, 2
	v_mov_b32_e32 v11, 1
	s_branch .LBB27_30
.LBB27_29:                              ;   in Loop: Header=BB27_30 Depth=1
	s_or_b64 exec, exec, s[6:7]
	v_sub_co_u32_e32 v28, vcc, v28, v38
	v_subb_co_u32_e32 v29, vcc, v29, v39, vcc
	v_cmp_eq_u64_e32 vcc, 0, v[28:29]
	v_add_u32_e32 v37, v37, v38
	s_or_b64 s[12:13], vcc, s[12:13]
	s_andn2_b64 exec, exec, s[12:13]
	s_cbranch_execz .LBB27_113
.LBB27_30:                              ; =>This Loop Header: Depth=1
                                        ;     Child Loop BB27_33 Depth 2
                                        ;     Child Loop BB27_41 Depth 2
	;; [unrolled: 1-line block ×11, first 2 shown]
	v_cmp_gt_u64_e32 vcc, 56, v[28:29]
	v_cmp_gt_u64_e64 s[4:5], 8, v[28:29]
	v_cndmask_b32_e32 v38, 56, v28, vcc
	v_add_u32_e32 v9, 8, v37
	s_and_saveexec_b64 s[6:7], s[4:5]
	s_xor_b64 s[6:7], exec, s[6:7]
	s_cbranch_execz .LBB27_36
; %bb.31:                               ;   in Loop: Header=BB27_30 Depth=1
	v_mov_b32_e32 v2, 0
	v_cmp_ne_u64_e64 s[4:5], 0, v[28:29]
	v_mov_b32_e32 v3, 0
	s_and_saveexec_b64 s[14:15], s[4:5]
	s_cbranch_execz .LBB27_35
; %bb.32:                               ;   in Loop: Header=BB27_30 Depth=1
	v_mov_b32_e32 v2, 0
	s_mov_b32 s22, 0
	s_mov_b64 s[16:17], 0
	v_mov_b32_e32 v3, 0
	s_mov_b64 s[18:19], 0
.LBB27_33:                              ;   Parent Loop BB27_30 Depth=1
                                        ; =>  This Inner Loop Header: Depth=2
	v_add_u32_e32 v8, s22, v37
	buffer_load_ubyte v8, v8, s[0:3], 0 offen
	v_mov_b32_e32 v9, s20
	s_add_i32 s22, s22, 1
	v_cmp_eq_u32_e64 s[4:5], s22, v38
	s_waitcnt vmcnt(0)
	v_and_b32_e32 v8, 0xffff, v8
	v_lshlrev_b64 v[8:9], s18, v[8:9]
	s_add_u32 s18, s18, 8
	s_addc_u32 s19, s19, 0
	v_or_b32_e32 v3, v9, v3
	s_or_b64 s[16:17], s[4:5], s[16:17]
	v_or_b32_e32 v2, v8, v2
	s_andn2_b64 exec, exec, s[16:17]
	s_cbranch_execnz .LBB27_33
; %bb.34:                               ;   in Loop: Header=BB27_30 Depth=1
	s_or_b64 exec, exec, s[16:17]
.LBB27_35:                              ;   in Loop: Header=BB27_30 Depth=1
	s_or_b64 exec, exec, s[14:15]
	v_mov_b32_e32 v9, v37
.LBB27_36:                              ;   in Loop: Header=BB27_30 Depth=1
	s_or_saveexec_b64 s[4:5], s[6:7]
	v_mov_b32_e32 v14, 0
	s_xor_b64 exec, exec, s[4:5]
	s_cbranch_execz .LBB27_38
; %bb.37:                               ;   in Loop: Header=BB27_30 Depth=1
	buffer_load_dword v2, v37, s[0:3], 0 offen
	buffer_load_dword v3, v37, s[0:3], 0 offen offset:4
	v_add_u32_e32 v14, -8, v38
.LBB27_38:                              ;   in Loop: Header=BB27_30 Depth=1
	s_or_b64 exec, exec, s[4:5]
	v_cmp_gt_u32_e64 s[4:5], 8, v14
	v_add_u32_e32 v8, 8, v9
                                        ; implicit-def: $vgpr12_vgpr13
	s_and_saveexec_b64 s[6:7], s[4:5]
	s_xor_b64 s[6:7], exec, s[6:7]
	s_cbranch_execz .LBB27_44
; %bb.39:                               ;   in Loop: Header=BB27_30 Depth=1
	v_mov_b32_e32 v12, 0
	v_mov_b32_e32 v13, 0
	v_cmp_ne_u32_e64 s[4:5], 0, v14
	s_and_saveexec_b64 s[14:15], s[4:5]
	s_cbranch_execz .LBB27_43
; %bb.40:                               ;   in Loop: Header=BB27_30 Depth=1
	v_mov_b32_e32 v12, 0
	s_mov_b32 s22, 0
	s_mov_b64 s[16:17], 0
	v_mov_b32_e32 v13, 0
	s_mov_b64 s[18:19], 0
.LBB27_41:                              ;   Parent Loop BB27_30 Depth=1
                                        ; =>  This Inner Loop Header: Depth=2
	v_add_u32_e32 v8, s22, v9
	buffer_load_ubyte v8, v8, s[0:3], 0 offen
	v_mov_b32_e32 v16, s20
	s_add_i32 s22, s22, 1
	v_cmp_eq_u32_e64 s[4:5], s22, v14
	s_waitcnt vmcnt(0)
	v_and_b32_e32 v15, 0xffff, v8
	v_lshlrev_b64 v[15:16], s18, v[15:16]
	s_add_u32 s18, s18, 8
	s_addc_u32 s19, s19, 0
	v_or_b32_e32 v13, v16, v13
	s_or_b64 s[16:17], s[4:5], s[16:17]
	v_or_b32_e32 v12, v15, v12
	s_andn2_b64 exec, exec, s[16:17]
	s_cbranch_execnz .LBB27_41
; %bb.42:                               ;   in Loop: Header=BB27_30 Depth=1
	s_or_b64 exec, exec, s[16:17]
.LBB27_43:                              ;   in Loop: Header=BB27_30 Depth=1
	s_or_b64 exec, exec, s[14:15]
	v_mov_b32_e32 v8, v9
                                        ; implicit-def: $vgpr14
.LBB27_44:                              ;   in Loop: Header=BB27_30 Depth=1
	s_or_saveexec_b64 s[4:5], s[6:7]
	v_mov_b32_e32 v16, 0
	s_xor_b64 exec, exec, s[4:5]
	s_cbranch_execz .LBB27_46
; %bb.45:                               ;   in Loop: Header=BB27_30 Depth=1
	buffer_load_dword v12, v9, s[0:3], 0 offen
	buffer_load_dword v13, v9, s[0:3], 0 offen offset:4
	v_add_u32_e32 v16, -8, v14
.LBB27_46:                              ;   in Loop: Header=BB27_30 Depth=1
	s_or_b64 exec, exec, s[4:5]
	v_cmp_gt_u32_e64 s[4:5], 8, v16
	v_add_u32_e32 v9, 8, v8
	s_and_saveexec_b64 s[6:7], s[4:5]
	s_xor_b64 s[6:7], exec, s[6:7]
	s_cbranch_execz .LBB27_52
; %bb.47:                               ;   in Loop: Header=BB27_30 Depth=1
	v_mov_b32_e32 v14, 0
	v_mov_b32_e32 v15, 0
	v_cmp_ne_u32_e64 s[4:5], 0, v16
	s_and_saveexec_b64 s[14:15], s[4:5]
	s_cbranch_execz .LBB27_51
; %bb.48:                               ;   in Loop: Header=BB27_30 Depth=1
	v_mov_b32_e32 v14, 0
	s_mov_b32 s22, 0
	s_mov_b64 s[16:17], 0
	v_mov_b32_e32 v15, 0
	s_mov_b64 s[18:19], 0
.LBB27_49:                              ;   Parent Loop BB27_30 Depth=1
                                        ; =>  This Inner Loop Header: Depth=2
	v_add_u32_e32 v9, s22, v8
	buffer_load_ubyte v9, v9, s[0:3], 0 offen
	v_mov_b32_e32 v18, s20
	s_add_i32 s22, s22, 1
	v_cmp_eq_u32_e64 s[4:5], s22, v16
	s_waitcnt vmcnt(0)
	v_and_b32_e32 v17, 0xffff, v9
	v_lshlrev_b64 v[17:18], s18, v[17:18]
	s_add_u32 s18, s18, 8
	s_addc_u32 s19, s19, 0
	v_or_b32_e32 v15, v18, v15
	s_or_b64 s[16:17], s[4:5], s[16:17]
	v_or_b32_e32 v14, v17, v14
	s_andn2_b64 exec, exec, s[16:17]
	s_cbranch_execnz .LBB27_49
; %bb.50:                               ;   in Loop: Header=BB27_30 Depth=1
	s_or_b64 exec, exec, s[16:17]
.LBB27_51:                              ;   in Loop: Header=BB27_30 Depth=1
	s_or_b64 exec, exec, s[14:15]
	v_mov_b32_e32 v9, v8
                                        ; implicit-def: $vgpr16
.LBB27_52:                              ;   in Loop: Header=BB27_30 Depth=1
	s_or_saveexec_b64 s[4:5], s[6:7]
	v_mov_b32_e32 v18, 0
	s_xor_b64 exec, exec, s[4:5]
	s_cbranch_execz .LBB27_54
; %bb.53:                               ;   in Loop: Header=BB27_30 Depth=1
	buffer_load_dword v14, v8, s[0:3], 0 offen
	buffer_load_dword v15, v8, s[0:3], 0 offen offset:4
	v_add_u32_e32 v18, -8, v16
.LBB27_54:                              ;   in Loop: Header=BB27_30 Depth=1
	s_or_b64 exec, exec, s[4:5]
	v_cmp_gt_u32_e64 s[4:5], 8, v18
	v_add_u32_e32 v8, 8, v9
                                        ; implicit-def: $vgpr16_vgpr17
	s_and_saveexec_b64 s[6:7], s[4:5]
	s_xor_b64 s[6:7], exec, s[6:7]
	s_cbranch_execz .LBB27_60
; %bb.55:                               ;   in Loop: Header=BB27_30 Depth=1
	v_mov_b32_e32 v16, 0
	v_mov_b32_e32 v17, 0
	v_cmp_ne_u32_e64 s[4:5], 0, v18
	s_and_saveexec_b64 s[14:15], s[4:5]
	s_cbranch_execz .LBB27_59
; %bb.56:                               ;   in Loop: Header=BB27_30 Depth=1
	v_mov_b32_e32 v16, 0
	s_mov_b32 s22, 0
	s_mov_b64 s[16:17], 0
	v_mov_b32_e32 v17, 0
	s_mov_b64 s[18:19], 0
.LBB27_57:                              ;   Parent Loop BB27_30 Depth=1
                                        ; =>  This Inner Loop Header: Depth=2
	v_add_u32_e32 v8, s22, v9
	buffer_load_ubyte v8, v8, s[0:3], 0 offen
	v_mov_b32_e32 v20, s20
	s_add_i32 s22, s22, 1
	v_cmp_eq_u32_e64 s[4:5], s22, v18
	s_waitcnt vmcnt(0)
	v_and_b32_e32 v19, 0xffff, v8
	v_lshlrev_b64 v[19:20], s18, v[19:20]
	s_add_u32 s18, s18, 8
	s_addc_u32 s19, s19, 0
	v_or_b32_e32 v17, v20, v17
	s_or_b64 s[16:17], s[4:5], s[16:17]
	v_or_b32_e32 v16, v19, v16
	s_andn2_b64 exec, exec, s[16:17]
	s_cbranch_execnz .LBB27_57
; %bb.58:                               ;   in Loop: Header=BB27_30 Depth=1
	s_or_b64 exec, exec, s[16:17]
.LBB27_59:                              ;   in Loop: Header=BB27_30 Depth=1
	s_or_b64 exec, exec, s[14:15]
	v_mov_b32_e32 v8, v9
                                        ; implicit-def: $vgpr18
.LBB27_60:                              ;   in Loop: Header=BB27_30 Depth=1
	s_or_saveexec_b64 s[4:5], s[6:7]
	v_mov_b32_e32 v20, 0
	s_xor_b64 exec, exec, s[4:5]
	s_cbranch_execz .LBB27_62
; %bb.61:                               ;   in Loop: Header=BB27_30 Depth=1
	buffer_load_dword v16, v9, s[0:3], 0 offen
	buffer_load_dword v17, v9, s[0:3], 0 offen offset:4
	v_add_u32_e32 v20, -8, v18
.LBB27_62:                              ;   in Loop: Header=BB27_30 Depth=1
	s_or_b64 exec, exec, s[4:5]
	v_cmp_gt_u32_e64 s[4:5], 8, v20
	v_add_u32_e32 v9, 8, v8
	s_and_saveexec_b64 s[6:7], s[4:5]
	s_xor_b64 s[6:7], exec, s[6:7]
	s_cbranch_execz .LBB27_68
; %bb.63:                               ;   in Loop: Header=BB27_30 Depth=1
	v_mov_b32_e32 v18, 0
	v_mov_b32_e32 v19, 0
	v_cmp_ne_u32_e64 s[4:5], 0, v20
	s_and_saveexec_b64 s[14:15], s[4:5]
	s_cbranch_execz .LBB27_67
; %bb.64:                               ;   in Loop: Header=BB27_30 Depth=1
	v_mov_b32_e32 v18, 0
	s_mov_b32 s22, 0
	s_mov_b64 s[16:17], 0
	v_mov_b32_e32 v19, 0
	s_mov_b64 s[18:19], 0
.LBB27_65:                              ;   Parent Loop BB27_30 Depth=1
                                        ; =>  This Inner Loop Header: Depth=2
	v_add_u32_e32 v9, s22, v8
	buffer_load_ubyte v9, v9, s[0:3], 0 offen
	v_mov_b32_e32 v22, s20
	s_add_i32 s22, s22, 1
	v_cmp_eq_u32_e64 s[4:5], s22, v20
	s_waitcnt vmcnt(0)
	v_and_b32_e32 v21, 0xffff, v9
	v_lshlrev_b64 v[21:22], s18, v[21:22]
	s_add_u32 s18, s18, 8
	s_addc_u32 s19, s19, 0
	v_or_b32_e32 v19, v22, v19
	s_or_b64 s[16:17], s[4:5], s[16:17]
	v_or_b32_e32 v18, v21, v18
	s_andn2_b64 exec, exec, s[16:17]
	s_cbranch_execnz .LBB27_65
; %bb.66:                               ;   in Loop: Header=BB27_30 Depth=1
	s_or_b64 exec, exec, s[16:17]
.LBB27_67:                              ;   in Loop: Header=BB27_30 Depth=1
	s_or_b64 exec, exec, s[14:15]
	v_mov_b32_e32 v9, v8
                                        ; implicit-def: $vgpr20
.LBB27_68:                              ;   in Loop: Header=BB27_30 Depth=1
	s_or_saveexec_b64 s[4:5], s[6:7]
	v_mov_b32_e32 v22, 0
	s_xor_b64 exec, exec, s[4:5]
	s_cbranch_execz .LBB27_70
; %bb.69:                               ;   in Loop: Header=BB27_30 Depth=1
	buffer_load_dword v18, v8, s[0:3], 0 offen
	buffer_load_dword v19, v8, s[0:3], 0 offen offset:4
	v_add_u32_e32 v22, -8, v20
.LBB27_70:                              ;   in Loop: Header=BB27_30 Depth=1
	s_or_b64 exec, exec, s[4:5]
	v_cmp_gt_u32_e64 s[4:5], 8, v22
	v_add_u32_e32 v8, 8, v9
                                        ; implicit-def: $vgpr20_vgpr21
	s_and_saveexec_b64 s[6:7], s[4:5]
	s_xor_b64 s[6:7], exec, s[6:7]
	s_cbranch_execz .LBB27_76
; %bb.71:                               ;   in Loop: Header=BB27_30 Depth=1
	v_mov_b32_e32 v20, 0
	v_mov_b32_e32 v21, 0
	v_cmp_ne_u32_e64 s[4:5], 0, v22
	s_and_saveexec_b64 s[14:15], s[4:5]
	s_cbranch_execz .LBB27_75
; %bb.72:                               ;   in Loop: Header=BB27_30 Depth=1
	v_mov_b32_e32 v20, 0
	s_mov_b32 s22, 0
	s_mov_b64 s[16:17], 0
	v_mov_b32_e32 v21, 0
	s_mov_b64 s[18:19], 0
.LBB27_73:                              ;   Parent Loop BB27_30 Depth=1
                                        ; =>  This Inner Loop Header: Depth=2
	v_add_u32_e32 v8, s22, v9
	buffer_load_ubyte v8, v8, s[0:3], 0 offen
	v_mov_b32_e32 v24, s20
	s_add_i32 s22, s22, 1
	v_cmp_eq_u32_e64 s[4:5], s22, v22
	s_waitcnt vmcnt(0)
	v_and_b32_e32 v23, 0xffff, v8
	v_lshlrev_b64 v[23:24], s18, v[23:24]
	s_add_u32 s18, s18, 8
	s_addc_u32 s19, s19, 0
	v_or_b32_e32 v21, v24, v21
	s_or_b64 s[16:17], s[4:5], s[16:17]
	v_or_b32_e32 v20, v23, v20
	s_andn2_b64 exec, exec, s[16:17]
	s_cbranch_execnz .LBB27_73
; %bb.74:                               ;   in Loop: Header=BB27_30 Depth=1
	s_or_b64 exec, exec, s[16:17]
.LBB27_75:                              ;   in Loop: Header=BB27_30 Depth=1
	s_or_b64 exec, exec, s[14:15]
	v_mov_b32_e32 v8, v9
                                        ; implicit-def: $vgpr22
.LBB27_76:                              ;   in Loop: Header=BB27_30 Depth=1
	s_or_saveexec_b64 s[4:5], s[6:7]
	v_mov_b32_e32 v24, 0
	s_xor_b64 exec, exec, s[4:5]
	s_cbranch_execz .LBB27_78
; %bb.77:                               ;   in Loop: Header=BB27_30 Depth=1
	buffer_load_dword v20, v9, s[0:3], 0 offen
	buffer_load_dword v21, v9, s[0:3], 0 offen offset:4
	v_add_u32_e32 v24, -8, v22
.LBB27_78:                              ;   in Loop: Header=BB27_30 Depth=1
	s_or_b64 exec, exec, s[4:5]
	v_cmp_gt_u32_e64 s[4:5], 8, v24
	s_and_saveexec_b64 s[6:7], s[4:5]
	s_xor_b64 s[6:7], exec, s[6:7]
	s_cbranch_execz .LBB27_84
; %bb.79:                               ;   in Loop: Header=BB27_30 Depth=1
	v_mov_b32_e32 v22, 0
	v_mov_b32_e32 v23, 0
	v_cmp_ne_u32_e64 s[4:5], 0, v24
	s_and_saveexec_b64 s[14:15], s[4:5]
	s_cbranch_execz .LBB27_83
; %bb.80:                               ;   in Loop: Header=BB27_30 Depth=1
	v_mov_b32_e32 v22, 0
	s_mov_b64 s[16:17], 0
	v_mov_b32_e32 v23, 0
	s_mov_b64 s[18:19], 0
.LBB27_81:                              ;   Parent Loop BB27_30 Depth=1
                                        ; =>  This Inner Loop Header: Depth=2
	buffer_load_ubyte v9, v8, s[0:3], 0 offen
	v_mov_b32_e32 v26, s20
	v_add_u32_e32 v24, -1, v24
	v_cmp_eq_u32_e64 s[4:5], 0, v24
	v_add_u32_e32 v8, 1, v8
	s_waitcnt vmcnt(0)
	v_and_b32_e32 v25, 0xffff, v9
	v_lshlrev_b64 v[25:26], s18, v[25:26]
	s_add_u32 s18, s18, 8
	s_addc_u32 s19, s19, 0
	v_or_b32_e32 v23, v26, v23
	s_or_b64 s[16:17], s[4:5], s[16:17]
	v_or_b32_e32 v22, v25, v22
	s_andn2_b64 exec, exec, s[16:17]
	s_cbranch_execnz .LBB27_81
; %bb.82:                               ;   in Loop: Header=BB27_30 Depth=1
	s_or_b64 exec, exec, s[16:17]
.LBB27_83:                              ;   in Loop: Header=BB27_30 Depth=1
	s_or_b64 exec, exec, s[14:15]
                                        ; implicit-def: $vgpr8
.LBB27_84:                              ;   in Loop: Header=BB27_30 Depth=1
	s_andn2_saveexec_b64 s[4:5], s[6:7]
	s_cbranch_execz .LBB27_86
; %bb.85:                               ;   in Loop: Header=BB27_30 Depth=1
	buffer_load_dword v22, v8, s[0:3], 0 offen
	buffer_load_dword v23, v8, s[0:3], 0 offen offset:4
.LBB27_86:                              ;   in Loop: Header=BB27_30 Depth=1
	s_or_b64 exec, exec, s[4:5]
	v_readfirstlane_b32 s4, v34
	v_mov_b32_e32 v8, 0
	v_mov_b32_e32 v9, 0
	v_cmp_eq_u32_e64 s[4:5], s4, v34
	s_and_saveexec_b64 s[14:15], s[4:5]
	s_cbranch_execz .LBB27_92
; %bb.87:                               ;   in Loop: Header=BB27_30 Depth=1
	global_load_dwordx2 v[26:27], v31, s[10:11] offset:24 glc
	s_waitcnt vmcnt(0)
	buffer_wbinvl1_vol
	global_load_dwordx2 v[8:9], v31, s[10:11] offset:40
	global_load_dwordx2 v[24:25], v31, s[10:11]
	s_waitcnt vmcnt(1)
	v_and_b32_e32 v8, v8, v26
	v_and_b32_e32 v9, v9, v27
	v_mul_lo_u32 v9, v9, 24
	v_mul_hi_u32 v30, v8, 24
	v_mul_lo_u32 v8, v8, 24
	v_add_u32_e32 v9, v30, v9
	s_waitcnt vmcnt(0)
	v_add_co_u32_e64 v8, s[6:7], v24, v8
	v_addc_co_u32_e64 v9, s[6:7], v25, v9, s[6:7]
	global_load_dwordx2 v[24:25], v[8:9], off glc
	s_waitcnt vmcnt(0)
	global_atomic_cmpswap_x2 v[8:9], v31, v[24:27], s[10:11] offset:24 glc
	s_waitcnt vmcnt(0)
	buffer_wbinvl1_vol
	v_cmp_ne_u64_e64 s[6:7], v[8:9], v[26:27]
	s_and_saveexec_b64 s[16:17], s[6:7]
	s_cbranch_execz .LBB27_91
; %bb.88:                               ;   in Loop: Header=BB27_30 Depth=1
	s_mov_b64 s[18:19], 0
.LBB27_89:                              ;   Parent Loop BB27_30 Depth=1
                                        ; =>  This Inner Loop Header: Depth=2
	s_sleep 1
	global_load_dwordx2 v[24:25], v31, s[10:11] offset:40
	global_load_dwordx2 v[32:33], v31, s[10:11]
	v_mov_b32_e32 v27, v9
	v_mov_b32_e32 v26, v8
	s_waitcnt vmcnt(1)
	v_and_b32_e32 v8, v24, v26
	s_waitcnt vmcnt(0)
	v_mad_u64_u32 v[8:9], s[6:7], v8, 24, v[32:33]
	v_and_b32_e32 v24, v25, v27
	v_mad_u64_u32 v[24:25], s[6:7], v24, 24, v[9:10]
	v_mov_b32_e32 v9, v24
	global_load_dwordx2 v[24:25], v[8:9], off glc
	s_waitcnt vmcnt(0)
	global_atomic_cmpswap_x2 v[8:9], v31, v[24:27], s[10:11] offset:24 glc
	s_waitcnt vmcnt(0)
	buffer_wbinvl1_vol
	v_cmp_eq_u64_e64 s[6:7], v[8:9], v[26:27]
	s_or_b64 s[18:19], s[6:7], s[18:19]
	s_andn2_b64 exec, exec, s[18:19]
	s_cbranch_execnz .LBB27_89
; %bb.90:                               ;   in Loop: Header=BB27_30 Depth=1
	s_or_b64 exec, exec, s[18:19]
.LBB27_91:                              ;   in Loop: Header=BB27_30 Depth=1
	s_or_b64 exec, exec, s[16:17]
.LBB27_92:                              ;   in Loop: Header=BB27_30 Depth=1
	s_or_b64 exec, exec, s[14:15]
	global_load_dwordx2 v[32:33], v31, s[10:11] offset:40
	global_load_dwordx4 v[24:27], v31, s[10:11]
	v_readfirstlane_b32 s15, v9
	v_readfirstlane_b32 s14, v8
	s_mov_b64 s[16:17], exec
	s_waitcnt vmcnt(1)
	v_readfirstlane_b32 s6, v32
	v_readfirstlane_b32 s7, v33
	s_and_b64 s[18:19], s[6:7], s[14:15]
	s_mul_i32 s6, s19, 24
	s_mul_hi_u32 s7, s18, 24
	s_mul_i32 s22, s18, 24
	s_add_i32 s6, s7, s6
	v_mov_b32_e32 v8, s6
	s_waitcnt vmcnt(0)
	v_add_co_u32_e64 v32, s[6:7], s22, v24
	v_addc_co_u32_e64 v33, s[6:7], v25, v8, s[6:7]
	s_and_saveexec_b64 s[6:7], s[4:5]
	s_cbranch_execz .LBB27_94
; %bb.93:                               ;   in Loop: Header=BB27_30 Depth=1
	v_mov_b32_e32 v8, s16
	v_mov_b32_e32 v9, s17
	global_store_dwordx4 v[32:33], v[8:11], off offset:8
.LBB27_94:                              ;   in Loop: Header=BB27_30 Depth=1
	s_or_b64 exec, exec, s[6:7]
	s_lshl_b64 s[6:7], s[18:19], 12
	v_cndmask_b32_e32 v39, 0, v29, vcc
	v_mov_b32_e32 v8, s7
	v_add_co_u32_e32 v26, vcc, s6, v26
	v_addc_co_u32_e32 v27, vcc, v27, v8, vcc
	v_cmp_gt_u64_e32 vcc, 57, v[28:29]
	v_and_b32_e32 v0, 0xffffff1f, v0
	v_cndmask_b32_e32 v8, 0, v36, vcc
	v_lshl_add_u32 v9, v38, 2, 28
	v_or_b32_e32 v0, v0, v8
	v_and_or_b32 v0, v9, s21, v0
	v_readfirstlane_b32 s6, v26
	v_readfirstlane_b32 s7, v27
	s_nop 4
	global_store_dwordx4 v35, v[0:3], s[6:7]
	global_store_dwordx4 v35, v[12:15], s[6:7] offset:16
	global_store_dwordx4 v35, v[16:19], s[6:7] offset:32
	;; [unrolled: 1-line block ×3, first 2 shown]
	s_and_saveexec_b64 s[6:7], s[4:5]
	s_cbranch_execz .LBB27_102
; %bb.95:                               ;   in Loop: Header=BB27_30 Depth=1
	global_load_dwordx2 v[14:15], v31, s[10:11] offset:32 glc
	global_load_dwordx2 v[0:1], v31, s[10:11] offset:40
	v_mov_b32_e32 v12, s14
	v_mov_b32_e32 v13, s15
	s_waitcnt vmcnt(0)
	v_readfirstlane_b32 s16, v0
	v_readfirstlane_b32 s17, v1
	s_and_b64 s[16:17], s[16:17], s[14:15]
	s_mul_i32 s17, s17, 24
	s_mul_hi_u32 s18, s16, 24
	s_mul_i32 s16, s16, 24
	s_add_i32 s17, s18, s17
	v_mov_b32_e32 v0, s17
	v_add_co_u32_e32 v8, vcc, s16, v24
	v_addc_co_u32_e32 v9, vcc, v25, v0, vcc
	global_store_dwordx2 v[8:9], v[14:15], off
	s_waitcnt vmcnt(0)
	global_atomic_cmpswap_x2 v[2:3], v31, v[12:15], s[10:11] offset:32 glc
	s_waitcnt vmcnt(0)
	v_cmp_ne_u64_e32 vcc, v[2:3], v[14:15]
	s_and_saveexec_b64 s[16:17], vcc
	s_cbranch_execz .LBB27_98
; %bb.96:                               ;   in Loop: Header=BB27_30 Depth=1
	s_mov_b64 s[18:19], 0
.LBB27_97:                              ;   Parent Loop BB27_30 Depth=1
                                        ; =>  This Inner Loop Header: Depth=2
	s_sleep 1
	global_store_dwordx2 v[8:9], v[2:3], off
	v_mov_b32_e32 v0, s14
	v_mov_b32_e32 v1, s15
	s_waitcnt vmcnt(0)
	global_atomic_cmpswap_x2 v[0:1], v31, v[0:3], s[10:11] offset:32 glc
	s_waitcnt vmcnt(0)
	v_cmp_eq_u64_e32 vcc, v[0:1], v[2:3]
	v_mov_b32_e32 v3, v1
	s_or_b64 s[18:19], vcc, s[18:19]
	v_mov_b32_e32 v2, v0
	s_andn2_b64 exec, exec, s[18:19]
	s_cbranch_execnz .LBB27_97
.LBB27_98:                              ;   in Loop: Header=BB27_30 Depth=1
	s_or_b64 exec, exec, s[16:17]
	global_load_dwordx2 v[0:1], v31, s[10:11] offset:16
	s_mov_b64 s[18:19], exec
	v_mbcnt_lo_u32_b32 v2, s18, 0
	v_mbcnt_hi_u32_b32 v2, s19, v2
	v_cmp_eq_u32_e32 vcc, 0, v2
	s_and_saveexec_b64 s[16:17], vcc
	s_cbranch_execz .LBB27_100
; %bb.99:                               ;   in Loop: Header=BB27_30 Depth=1
	s_bcnt1_i32_b64 s18, s[18:19]
	v_mov_b32_e32 v30, s18
	s_waitcnt vmcnt(0)
	global_atomic_add_x2 v[0:1], v[30:31], off offset:8
.LBB27_100:                             ;   in Loop: Header=BB27_30 Depth=1
	s_or_b64 exec, exec, s[16:17]
	s_waitcnt vmcnt(0)
	global_load_dwordx2 v[2:3], v[0:1], off offset:16
	s_waitcnt vmcnt(0)
	v_cmp_eq_u64_e32 vcc, 0, v[2:3]
	s_cbranch_vccnz .LBB27_102
; %bb.101:                              ;   in Loop: Header=BB27_30 Depth=1
	global_load_dword v30, v[0:1], off offset:24
	s_waitcnt vmcnt(0)
	v_readfirstlane_b32 s16, v30
	s_and_b32 m0, s16, 0xffffff
	global_store_dwordx2 v[2:3], v[30:31], off
	s_sendmsg sendmsg(MSG_INTERRUPT)
.LBB27_102:                             ;   in Loop: Header=BB27_30 Depth=1
	s_or_b64 exec, exec, s[6:7]
	v_add_co_u32_e32 v0, vcc, v26, v35
	v_addc_co_u32_e32 v1, vcc, 0, v27, vcc
	s_branch .LBB27_106
.LBB27_103:                             ;   in Loop: Header=BB27_106 Depth=2
	s_or_b64 exec, exec, s[6:7]
	v_readfirstlane_b32 s6, v2
	s_cmp_eq_u32 s6, 0
	s_cbranch_scc1 .LBB27_105
; %bb.104:                              ;   in Loop: Header=BB27_106 Depth=2
	s_sleep 1
	s_cbranch_execnz .LBB27_106
	s_branch .LBB27_108
.LBB27_105:                             ;   in Loop: Header=BB27_30 Depth=1
	s_branch .LBB27_108
.LBB27_106:                             ;   Parent Loop BB27_30 Depth=1
                                        ; =>  This Inner Loop Header: Depth=2
	v_mov_b32_e32 v2, 1
	s_and_saveexec_b64 s[6:7], s[4:5]
	s_cbranch_execz .LBB27_103
; %bb.107:                              ;   in Loop: Header=BB27_106 Depth=2
	global_load_dword v2, v[32:33], off offset:20 glc
	s_waitcnt vmcnt(0)
	buffer_wbinvl1_vol
	v_and_b32_e32 v2, 1, v2
	s_branch .LBB27_103
.LBB27_108:                             ;   in Loop: Header=BB27_30 Depth=1
	global_load_dwordx2 v[0:1], v[0:1], off
	s_and_saveexec_b64 s[6:7], s[4:5]
	s_cbranch_execz .LBB27_29
; %bb.109:                              ;   in Loop: Header=BB27_30 Depth=1
	global_load_dwordx2 v[2:3], v31, s[10:11] offset:40
	global_load_dwordx2 v[16:17], v31, s[10:11] offset:24 glc
	global_load_dwordx2 v[8:9], v31, s[10:11]
	s_waitcnt vmcnt(2)
	v_readfirstlane_b32 s16, v2
	v_readfirstlane_b32 s17, v3
	s_add_u32 s18, s16, 1
	s_addc_u32 s19, s17, 0
	s_add_u32 s4, s18, s14
	s_addc_u32 s5, s19, s15
	s_cmp_eq_u64 s[4:5], 0
	s_cselect_b32 s5, s19, s5
	s_cselect_b32 s4, s18, s4
	s_and_b64 s[14:15], s[4:5], s[16:17]
	s_mul_i32 s15, s15, 24
	s_mul_hi_u32 s16, s14, 24
	s_mul_i32 s14, s14, 24
	s_add_i32 s15, s16, s15
	v_mov_b32_e32 v3, s15
	s_waitcnt vmcnt(0)
	v_add_co_u32_e32 v2, vcc, s14, v8
	v_addc_co_u32_e32 v3, vcc, v9, v3, vcc
	v_mov_b32_e32 v14, s4
	global_store_dwordx2 v[2:3], v[16:17], off
	v_mov_b32_e32 v15, s5
	s_waitcnt vmcnt(0)
	global_atomic_cmpswap_x2 v[14:15], v31, v[14:17], s[10:11] offset:24 glc
	s_waitcnt vmcnt(0)
	v_cmp_ne_u64_e32 vcc, v[14:15], v[16:17]
	s_and_b64 exec, exec, vcc
	s_cbranch_execz .LBB27_29
; %bb.110:                              ;   in Loop: Header=BB27_30 Depth=1
	s_mov_b64 s[14:15], 0
.LBB27_111:                             ;   Parent Loop BB27_30 Depth=1
                                        ; =>  This Inner Loop Header: Depth=2
	s_sleep 1
	global_store_dwordx2 v[2:3], v[14:15], off
	v_mov_b32_e32 v12, s4
	v_mov_b32_e32 v13, s5
	s_waitcnt vmcnt(0)
	global_atomic_cmpswap_x2 v[8:9], v31, v[12:15], s[10:11] offset:24 glc
	s_waitcnt vmcnt(0)
	v_cmp_eq_u64_e32 vcc, v[8:9], v[14:15]
	v_mov_b32_e32 v15, v9
	s_or_b64 s[14:15], vcc, s[14:15]
	v_mov_b32_e32 v14, v8
	s_andn2_b64 exec, exec, s[14:15]
	s_cbranch_execnz .LBB27_111
	s_branch .LBB27_29
.LBB27_112:
                                        ; implicit-def: $vgpr0_vgpr1
	s_cbranch_execnz .LBB27_114
	s_branch .LBB27_140
.LBB27_113:
	s_or_b64 exec, exec, s[12:13]
	s_branch .LBB27_140
.LBB27_114:
	v_readfirstlane_b32 s4, v34
	v_mov_b32_e32 v9, 0
	v_mov_b32_e32 v10, 0
	v_cmp_eq_u32_e64 s[4:5], s4, v34
	s_and_saveexec_b64 s[6:7], s[4:5]
	s_cbranch_execz .LBB27_120
; %bb.115:
	s_waitcnt vmcnt(0)
	v_mov_b32_e32 v0, 0
	global_load_dwordx2 v[11:12], v0, s[10:11] offset:24 glc
	s_waitcnt vmcnt(0)
	buffer_wbinvl1_vol
	global_load_dwordx2 v[1:2], v0, s[10:11] offset:40
	global_load_dwordx2 v[8:9], v0, s[10:11]
	s_waitcnt vmcnt(1)
	v_and_b32_e32 v1, v1, v11
	v_and_b32_e32 v2, v2, v12
	v_mul_lo_u32 v2, v2, 24
	v_mul_hi_u32 v3, v1, 24
	v_mul_lo_u32 v1, v1, 24
	v_add_u32_e32 v2, v3, v2
	s_waitcnt vmcnt(0)
	v_add_co_u32_e32 v1, vcc, v8, v1
	v_addc_co_u32_e32 v2, vcc, v9, v2, vcc
	global_load_dwordx2 v[9:10], v[1:2], off glc
	s_waitcnt vmcnt(0)
	global_atomic_cmpswap_x2 v[9:10], v0, v[9:12], s[10:11] offset:24 glc
	s_waitcnt vmcnt(0)
	buffer_wbinvl1_vol
	v_cmp_ne_u64_e32 vcc, v[9:10], v[11:12]
	s_and_saveexec_b64 s[12:13], vcc
	s_cbranch_execz .LBB27_119
; %bb.116:
	s_mov_b64 s[14:15], 0
.LBB27_117:                             ; =>This Inner Loop Header: Depth=1
	s_sleep 1
	global_load_dwordx2 v[1:2], v0, s[10:11] offset:40
	global_load_dwordx2 v[13:14], v0, s[10:11]
	v_mov_b32_e32 v12, v10
	v_mov_b32_e32 v11, v9
	s_waitcnt vmcnt(1)
	v_and_b32_e32 v1, v1, v11
	s_waitcnt vmcnt(0)
	v_mad_u64_u32 v[8:9], s[16:17], v1, 24, v[13:14]
	v_and_b32_e32 v2, v2, v12
	v_mov_b32_e32 v1, v9
	v_mad_u64_u32 v[1:2], s[16:17], v2, 24, v[1:2]
	v_mov_b32_e32 v9, v1
	global_load_dwordx2 v[9:10], v[8:9], off glc
	s_waitcnt vmcnt(0)
	global_atomic_cmpswap_x2 v[9:10], v0, v[9:12], s[10:11] offset:24 glc
	s_waitcnt vmcnt(0)
	buffer_wbinvl1_vol
	v_cmp_eq_u64_e32 vcc, v[9:10], v[11:12]
	s_or_b64 s[14:15], vcc, s[14:15]
	s_andn2_b64 exec, exec, s[14:15]
	s_cbranch_execnz .LBB27_117
; %bb.118:
	s_or_b64 exec, exec, s[14:15]
.LBB27_119:
	s_or_b64 exec, exec, s[12:13]
.LBB27_120:
	s_or_b64 exec, exec, s[6:7]
	v_mov_b32_e32 v8, 0
	global_load_dwordx2 v[11:12], v8, s[10:11] offset:40
	global_load_dwordx4 v[0:3], v8, s[10:11]
	v_readfirstlane_b32 s7, v10
	v_readfirstlane_b32 s6, v9
	s_mov_b64 s[12:13], exec
	s_waitcnt vmcnt(1)
	v_readfirstlane_b32 s14, v11
	v_readfirstlane_b32 s15, v12
	s_and_b64 s[14:15], s[14:15], s[6:7]
	s_mul_i32 s16, s15, 24
	s_mul_hi_u32 s17, s14, 24
	s_mul_i32 s18, s14, 24
	s_add_i32 s16, s17, s16
	v_mov_b32_e32 v9, s16
	s_waitcnt vmcnt(0)
	v_add_co_u32_e32 v10, vcc, s18, v0
	v_addc_co_u32_e32 v11, vcc, v1, v9, vcc
	s_and_saveexec_b64 s[16:17], s[4:5]
	s_cbranch_execz .LBB27_122
; %bb.121:
	v_mov_b32_e32 v12, s12
	v_mov_b32_e32 v13, s13
	;; [unrolled: 1-line block ×4, first 2 shown]
	global_store_dwordx4 v[10:11], v[12:15], off offset:8
.LBB27_122:
	s_or_b64 exec, exec, s[16:17]
	s_lshl_b64 s[12:13], s[14:15], 12
	v_mov_b32_e32 v9, s13
	v_add_co_u32_e32 v2, vcc, s12, v2
	v_addc_co_u32_e32 v3, vcc, v3, v9, vcc
	s_movk_i32 s12, 0xff1f
	v_and_or_b32 v6, v6, s12, 32
	s_mov_b32 s12, 0
	v_mov_b32_e32 v9, v8
	v_readfirstlane_b32 s16, v2
	v_readfirstlane_b32 s17, v3
	v_add_co_u32_e32 v12, vcc, v2, v35
	s_mov_b32 s13, s12
	s_mov_b32 s14, s12
	;; [unrolled: 1-line block ×3, first 2 shown]
	s_nop 0
	global_store_dwordx4 v35, v[6:9], s[16:17]
	v_addc_co_u32_e32 v13, vcc, 0, v3, vcc
	v_mov_b32_e32 v6, s12
	v_mov_b32_e32 v7, s13
	;; [unrolled: 1-line block ×4, first 2 shown]
	global_store_dwordx4 v35, v[6:9], s[16:17] offset:16
	global_store_dwordx4 v35, v[6:9], s[16:17] offset:32
	global_store_dwordx4 v35, v[6:9], s[16:17] offset:48
	s_and_saveexec_b64 s[12:13], s[4:5]
	s_cbranch_execz .LBB27_130
; %bb.123:
	v_mov_b32_e32 v8, 0
	global_load_dwordx2 v[16:17], v8, s[10:11] offset:32 glc
	global_load_dwordx2 v[2:3], v8, s[10:11] offset:40
	v_mov_b32_e32 v14, s6
	v_mov_b32_e32 v15, s7
	s_waitcnt vmcnt(0)
	v_readfirstlane_b32 s14, v2
	v_readfirstlane_b32 s15, v3
	s_and_b64 s[14:15], s[14:15], s[6:7]
	s_mul_i32 s15, s15, 24
	s_mul_hi_u32 s16, s14, 24
	s_mul_i32 s14, s14, 24
	s_add_i32 s15, s16, s15
	v_mov_b32_e32 v2, s15
	v_add_co_u32_e32 v6, vcc, s14, v0
	v_addc_co_u32_e32 v7, vcc, v1, v2, vcc
	global_store_dwordx2 v[6:7], v[16:17], off
	s_waitcnt vmcnt(0)
	global_atomic_cmpswap_x2 v[2:3], v8, v[14:17], s[10:11] offset:32 glc
	s_waitcnt vmcnt(0)
	v_cmp_ne_u64_e32 vcc, v[2:3], v[16:17]
	s_and_saveexec_b64 s[14:15], vcc
	s_cbranch_execz .LBB27_126
; %bb.124:
	s_mov_b64 s[16:17], 0
.LBB27_125:                             ; =>This Inner Loop Header: Depth=1
	s_sleep 1
	global_store_dwordx2 v[6:7], v[2:3], off
	v_mov_b32_e32 v0, s6
	v_mov_b32_e32 v1, s7
	s_waitcnt vmcnt(0)
	global_atomic_cmpswap_x2 v[0:1], v8, v[0:3], s[10:11] offset:32 glc
	s_waitcnt vmcnt(0)
	v_cmp_eq_u64_e32 vcc, v[0:1], v[2:3]
	v_mov_b32_e32 v3, v1
	s_or_b64 s[16:17], vcc, s[16:17]
	v_mov_b32_e32 v2, v0
	s_andn2_b64 exec, exec, s[16:17]
	s_cbranch_execnz .LBB27_125
.LBB27_126:
	s_or_b64 exec, exec, s[14:15]
	v_mov_b32_e32 v3, 0
	global_load_dwordx2 v[0:1], v3, s[10:11] offset:16
	s_mov_b64 s[14:15], exec
	v_mbcnt_lo_u32_b32 v2, s14, 0
	v_mbcnt_hi_u32_b32 v2, s15, v2
	v_cmp_eq_u32_e32 vcc, 0, v2
	s_and_saveexec_b64 s[16:17], vcc
	s_cbranch_execz .LBB27_128
; %bb.127:
	s_bcnt1_i32_b64 s14, s[14:15]
	v_mov_b32_e32 v2, s14
	s_waitcnt vmcnt(0)
	global_atomic_add_x2 v[0:1], v[2:3], off offset:8
.LBB27_128:
	s_or_b64 exec, exec, s[16:17]
	s_waitcnt vmcnt(0)
	global_load_dwordx2 v[2:3], v[0:1], off offset:16
	s_waitcnt vmcnt(0)
	v_cmp_eq_u64_e32 vcc, 0, v[2:3]
	s_cbranch_vccnz .LBB27_130
; %bb.129:
	global_load_dword v0, v[0:1], off offset:24
	v_mov_b32_e32 v1, 0
	s_waitcnt vmcnt(0)
	v_readfirstlane_b32 s14, v0
	s_and_b32 m0, s14, 0xffffff
	global_store_dwordx2 v[2:3], v[0:1], off
	s_sendmsg sendmsg(MSG_INTERRUPT)
.LBB27_130:
	s_or_b64 exec, exec, s[12:13]
	s_branch .LBB27_134
.LBB27_131:                             ;   in Loop: Header=BB27_134 Depth=1
	s_or_b64 exec, exec, s[12:13]
	v_readfirstlane_b32 s12, v0
	s_cmp_eq_u32 s12, 0
	s_cbranch_scc1 .LBB27_133
; %bb.132:                              ;   in Loop: Header=BB27_134 Depth=1
	s_sleep 1
	s_cbranch_execnz .LBB27_134
	s_branch .LBB27_136
.LBB27_133:
	s_branch .LBB27_136
.LBB27_134:                             ; =>This Inner Loop Header: Depth=1
	v_mov_b32_e32 v0, 1
	s_and_saveexec_b64 s[12:13], s[4:5]
	s_cbranch_execz .LBB27_131
; %bb.135:                              ;   in Loop: Header=BB27_134 Depth=1
	global_load_dword v0, v[10:11], off offset:20 glc
	s_waitcnt vmcnt(0)
	buffer_wbinvl1_vol
	v_and_b32_e32 v0, 1, v0
	s_branch .LBB27_131
.LBB27_136:
	global_load_dwordx2 v[0:1], v[12:13], off
	s_and_saveexec_b64 s[12:13], s[4:5]
	s_cbranch_execz .LBB27_139
; %bb.137:
	v_mov_b32_e32 v10, 0
	global_load_dwordx2 v[2:3], v10, s[10:11] offset:40
	global_load_dwordx2 v[13:14], v10, s[10:11] offset:24 glc
	global_load_dwordx2 v[6:7], v10, s[10:11]
	s_waitcnt vmcnt(2)
	v_readfirstlane_b32 s14, v2
	v_readfirstlane_b32 s15, v3
	s_add_u32 s16, s14, 1
	s_addc_u32 s17, s15, 0
	s_add_u32 s4, s16, s6
	s_addc_u32 s5, s17, s7
	s_cmp_eq_u64 s[4:5], 0
	s_cselect_b32 s5, s17, s5
	s_cselect_b32 s4, s16, s4
	s_and_b64 s[6:7], s[4:5], s[14:15]
	s_mul_i32 s7, s7, 24
	s_mul_hi_u32 s14, s6, 24
	s_mul_i32 s6, s6, 24
	s_add_i32 s7, s14, s7
	v_mov_b32_e32 v3, s7
	s_waitcnt vmcnt(0)
	v_add_co_u32_e32 v2, vcc, s6, v6
	v_addc_co_u32_e32 v3, vcc, v7, v3, vcc
	v_mov_b32_e32 v11, s4
	global_store_dwordx2 v[2:3], v[13:14], off
	v_mov_b32_e32 v12, s5
	s_waitcnt vmcnt(0)
	global_atomic_cmpswap_x2 v[8:9], v10, v[11:14], s[10:11] offset:24 glc
	s_mov_b64 s[6:7], 0
	s_waitcnt vmcnt(0)
	v_cmp_ne_u64_e32 vcc, v[8:9], v[13:14]
	s_and_b64 exec, exec, vcc
	s_cbranch_execz .LBB27_139
.LBB27_138:                             ; =>This Inner Loop Header: Depth=1
	s_sleep 1
	global_store_dwordx2 v[2:3], v[8:9], off
	v_mov_b32_e32 v6, s4
	v_mov_b32_e32 v7, s5
	s_waitcnt vmcnt(0)
	global_atomic_cmpswap_x2 v[6:7], v10, v[6:9], s[10:11] offset:24 glc
	s_waitcnt vmcnt(0)
	v_cmp_eq_u64_e32 vcc, v[6:7], v[8:9]
	v_mov_b32_e32 v9, v7
	s_or_b64 s[6:7], vcc, s[6:7]
	v_mov_b32_e32 v8, v6
	s_andn2_b64 exec, exec, s[6:7]
	s_cbranch_execnz .LBB27_138
.LBB27_139:
	s_or_b64 exec, exec, s[12:13]
.LBB27_140:
	s_getpc_b64 s[6:7]
	s_add_u32 s6, s6, .str.1@rel32@lo+4
	s_addc_u32 s7, s7, .str.1@rel32@hi+12
	s_cmp_lg_u64 s[6:7], 0
	s_cbranch_scc0 .LBB27_225
; %bb.141:
	s_getpc_b64 s[4:5]
	s_add_u32 s4, s4, .str.1@rel32@lo+93
	s_addc_u32 s5, s5, .str.1@rel32@hi+101
	s_sub_i32 s12, s4, s6
	s_ashr_i32 s13, s12, 31
	s_waitcnt vmcnt(0)
	v_and_b32_e32 v32, 2, v0
	v_mov_b32_e32 v3, 0
	v_and_b32_e32 v6, -3, v0
	v_mov_b32_e32 v7, v1
	v_mov_b32_e32 v12, 2
	v_mov_b32_e32 v13, 1
	s_branch .LBB27_143
.LBB27_142:                             ;   in Loop: Header=BB27_143 Depth=1
	s_or_b64 exec, exec, s[18:19]
	s_sub_u32 s12, s12, s14
	s_subb_u32 s13, s13, s15
	s_add_u32 s6, s6, s14
	s_addc_u32 s7, s7, s15
	s_cmp_lg_u64 s[12:13], 0
	s_cbranch_scc0 .LBB27_226
.LBB27_143:                             ; =>This Loop Header: Depth=1
                                        ;     Child Loop BB27_146 Depth 2
                                        ;     Child Loop BB27_154 Depth 2
	;; [unrolled: 1-line block ×11, first 2 shown]
	v_cmp_lt_u64_e64 s[4:5], s[12:13], 56
	v_cmp_gt_u64_e64 s[16:17], s[12:13], 7
	s_and_b64 s[4:5], s[4:5], exec
	s_cselect_b32 s15, s13, 0
	s_cselect_b32 s14, s12, 56
	s_add_u32 s4, s6, 8
	s_addc_u32 s5, s7, 0
	s_and_b64 vcc, exec, s[16:17]
	s_cbranch_vccnz .LBB27_147
; %bb.144:                              ;   in Loop: Header=BB27_143 Depth=1
	s_cmp_eq_u64 s[12:13], 0
	s_cbranch_scc1 .LBB27_148
; %bb.145:                              ;   in Loop: Header=BB27_143 Depth=1
	v_mov_b32_e32 v8, 0
	s_lshl_b64 s[4:5], s[14:15], 3
	s_mov_b64 s[16:17], 0
	v_mov_b32_e32 v9, 0
	s_mov_b64 s[18:19], s[6:7]
.LBB27_146:                             ;   Parent Loop BB27_143 Depth=1
                                        ; =>  This Inner Loop Header: Depth=2
	global_load_ubyte v2, v3, s[18:19]
	s_waitcnt vmcnt(0)
	v_and_b32_e32 v2, 0xffff, v2
	v_lshlrev_b64 v[10:11], s16, v[2:3]
	s_add_u32 s16, s16, 8
	s_addc_u32 s17, s17, 0
	s_add_u32 s18, s18, 1
	s_addc_u32 s19, s19, 0
	v_or_b32_e32 v8, v10, v8
	s_cmp_lg_u32 s4, s16
	v_or_b32_e32 v9, v11, v9
	s_cbranch_scc1 .LBB27_146
	s_branch .LBB27_149
.LBB27_147:                             ;   in Loop: Header=BB27_143 Depth=1
	s_mov_b32 s20, 0
	s_branch .LBB27_150
.LBB27_148:                             ;   in Loop: Header=BB27_143 Depth=1
	v_mov_b32_e32 v8, 0
	v_mov_b32_e32 v9, 0
.LBB27_149:                             ;   in Loop: Header=BB27_143 Depth=1
	s_mov_b64 s[4:5], s[6:7]
	s_mov_b32 s20, 0
	s_cbranch_execnz .LBB27_151
.LBB27_150:                             ;   in Loop: Header=BB27_143 Depth=1
	global_load_dwordx2 v[8:9], v3, s[6:7]
	s_add_i32 s20, s14, -8
.LBB27_151:                             ;   in Loop: Header=BB27_143 Depth=1
	s_add_u32 s16, s4, 8
	s_addc_u32 s17, s5, 0
	s_cmp_gt_u32 s20, 7
	s_cbranch_scc1 .LBB27_155
; %bb.152:                              ;   in Loop: Header=BB27_143 Depth=1
	s_cmp_eq_u32 s20, 0
	s_cbranch_scc1 .LBB27_156
; %bb.153:                              ;   in Loop: Header=BB27_143 Depth=1
	v_mov_b32_e32 v14, 0
	s_mov_b64 s[16:17], 0
	v_mov_b32_e32 v15, 0
	s_mov_b64 s[18:19], 0
.LBB27_154:                             ;   Parent Loop BB27_143 Depth=1
                                        ; =>  This Inner Loop Header: Depth=2
	s_add_u32 s22, s4, s18
	s_addc_u32 s23, s5, s19
	global_load_ubyte v2, v3, s[22:23]
	s_add_u32 s18, s18, 1
	s_addc_u32 s19, s19, 0
	s_waitcnt vmcnt(0)
	v_and_b32_e32 v2, 0xffff, v2
	v_lshlrev_b64 v[10:11], s16, v[2:3]
	s_add_u32 s16, s16, 8
	s_addc_u32 s17, s17, 0
	v_or_b32_e32 v14, v10, v14
	s_cmp_lg_u32 s20, s18
	v_or_b32_e32 v15, v11, v15
	s_cbranch_scc1 .LBB27_154
	s_branch .LBB27_157
.LBB27_155:                             ;   in Loop: Header=BB27_143 Depth=1
                                        ; implicit-def: $vgpr14_vgpr15
	s_mov_b32 s21, 0
	s_branch .LBB27_158
.LBB27_156:                             ;   in Loop: Header=BB27_143 Depth=1
	v_mov_b32_e32 v14, 0
	v_mov_b32_e32 v15, 0
.LBB27_157:                             ;   in Loop: Header=BB27_143 Depth=1
	s_mov_b64 s[16:17], s[4:5]
	s_mov_b32 s21, 0
	s_cbranch_execnz .LBB27_159
.LBB27_158:                             ;   in Loop: Header=BB27_143 Depth=1
	global_load_dwordx2 v[14:15], v3, s[4:5]
	s_add_i32 s21, s20, -8
.LBB27_159:                             ;   in Loop: Header=BB27_143 Depth=1
	s_add_u32 s4, s16, 8
	s_addc_u32 s5, s17, 0
	s_cmp_gt_u32 s21, 7
	s_cbranch_scc1 .LBB27_163
; %bb.160:                              ;   in Loop: Header=BB27_143 Depth=1
	s_cmp_eq_u32 s21, 0
	s_cbranch_scc1 .LBB27_164
; %bb.161:                              ;   in Loop: Header=BB27_143 Depth=1
	v_mov_b32_e32 v16, 0
	s_mov_b64 s[4:5], 0
	v_mov_b32_e32 v17, 0
	s_mov_b64 s[18:19], 0
.LBB27_162:                             ;   Parent Loop BB27_143 Depth=1
                                        ; =>  This Inner Loop Header: Depth=2
	s_add_u32 s22, s16, s18
	s_addc_u32 s23, s17, s19
	global_load_ubyte v2, v3, s[22:23]
	s_add_u32 s18, s18, 1
	s_addc_u32 s19, s19, 0
	s_waitcnt vmcnt(0)
	v_and_b32_e32 v2, 0xffff, v2
	v_lshlrev_b64 v[10:11], s4, v[2:3]
	s_add_u32 s4, s4, 8
	s_addc_u32 s5, s5, 0
	v_or_b32_e32 v16, v10, v16
	s_cmp_lg_u32 s21, s18
	v_or_b32_e32 v17, v11, v17
	s_cbranch_scc1 .LBB27_162
	s_branch .LBB27_165
.LBB27_163:                             ;   in Loop: Header=BB27_143 Depth=1
	s_mov_b32 s20, 0
	s_branch .LBB27_166
.LBB27_164:                             ;   in Loop: Header=BB27_143 Depth=1
	v_mov_b32_e32 v16, 0
	v_mov_b32_e32 v17, 0
.LBB27_165:                             ;   in Loop: Header=BB27_143 Depth=1
	s_mov_b64 s[4:5], s[16:17]
	s_mov_b32 s20, 0
	s_cbranch_execnz .LBB27_167
.LBB27_166:                             ;   in Loop: Header=BB27_143 Depth=1
	global_load_dwordx2 v[16:17], v3, s[16:17]
	s_add_i32 s20, s21, -8
.LBB27_167:                             ;   in Loop: Header=BB27_143 Depth=1
	s_add_u32 s16, s4, 8
	s_addc_u32 s17, s5, 0
	s_cmp_gt_u32 s20, 7
	s_cbranch_scc1 .LBB27_171
; %bb.168:                              ;   in Loop: Header=BB27_143 Depth=1
	s_cmp_eq_u32 s20, 0
	s_cbranch_scc1 .LBB27_172
; %bb.169:                              ;   in Loop: Header=BB27_143 Depth=1
	v_mov_b32_e32 v18, 0
	s_mov_b64 s[16:17], 0
	v_mov_b32_e32 v19, 0
	s_mov_b64 s[18:19], 0
.LBB27_170:                             ;   Parent Loop BB27_143 Depth=1
                                        ; =>  This Inner Loop Header: Depth=2
	s_add_u32 s22, s4, s18
	s_addc_u32 s23, s5, s19
	global_load_ubyte v2, v3, s[22:23]
	s_add_u32 s18, s18, 1
	s_addc_u32 s19, s19, 0
	s_waitcnt vmcnt(0)
	v_and_b32_e32 v2, 0xffff, v2
	v_lshlrev_b64 v[10:11], s16, v[2:3]
	s_add_u32 s16, s16, 8
	s_addc_u32 s17, s17, 0
	v_or_b32_e32 v18, v10, v18
	s_cmp_lg_u32 s20, s18
	v_or_b32_e32 v19, v11, v19
	s_cbranch_scc1 .LBB27_170
	s_branch .LBB27_173
.LBB27_171:                             ;   in Loop: Header=BB27_143 Depth=1
                                        ; implicit-def: $vgpr18_vgpr19
	s_mov_b32 s21, 0
	s_branch .LBB27_174
.LBB27_172:                             ;   in Loop: Header=BB27_143 Depth=1
	v_mov_b32_e32 v18, 0
	v_mov_b32_e32 v19, 0
.LBB27_173:                             ;   in Loop: Header=BB27_143 Depth=1
	s_mov_b64 s[16:17], s[4:5]
	s_mov_b32 s21, 0
	s_cbranch_execnz .LBB27_175
.LBB27_174:                             ;   in Loop: Header=BB27_143 Depth=1
	global_load_dwordx2 v[18:19], v3, s[4:5]
	s_add_i32 s21, s20, -8
.LBB27_175:                             ;   in Loop: Header=BB27_143 Depth=1
	s_add_u32 s4, s16, 8
	s_addc_u32 s5, s17, 0
	s_cmp_gt_u32 s21, 7
	s_cbranch_scc1 .LBB27_179
; %bb.176:                              ;   in Loop: Header=BB27_143 Depth=1
	s_cmp_eq_u32 s21, 0
	s_cbranch_scc1 .LBB27_180
; %bb.177:                              ;   in Loop: Header=BB27_143 Depth=1
	v_mov_b32_e32 v20, 0
	s_mov_b64 s[4:5], 0
	v_mov_b32_e32 v21, 0
	s_mov_b64 s[18:19], 0
.LBB27_178:                             ;   Parent Loop BB27_143 Depth=1
                                        ; =>  This Inner Loop Header: Depth=2
	s_add_u32 s22, s16, s18
	s_addc_u32 s23, s17, s19
	global_load_ubyte v2, v3, s[22:23]
	s_add_u32 s18, s18, 1
	s_addc_u32 s19, s19, 0
	s_waitcnt vmcnt(0)
	v_and_b32_e32 v2, 0xffff, v2
	v_lshlrev_b64 v[10:11], s4, v[2:3]
	s_add_u32 s4, s4, 8
	s_addc_u32 s5, s5, 0
	v_or_b32_e32 v20, v10, v20
	s_cmp_lg_u32 s21, s18
	v_or_b32_e32 v21, v11, v21
	s_cbranch_scc1 .LBB27_178
	s_branch .LBB27_181
.LBB27_179:                             ;   in Loop: Header=BB27_143 Depth=1
	s_mov_b32 s20, 0
	s_branch .LBB27_182
.LBB27_180:                             ;   in Loop: Header=BB27_143 Depth=1
	v_mov_b32_e32 v20, 0
	v_mov_b32_e32 v21, 0
.LBB27_181:                             ;   in Loop: Header=BB27_143 Depth=1
	s_mov_b64 s[4:5], s[16:17]
	s_mov_b32 s20, 0
	s_cbranch_execnz .LBB27_183
.LBB27_182:                             ;   in Loop: Header=BB27_143 Depth=1
	global_load_dwordx2 v[20:21], v3, s[16:17]
	s_add_i32 s20, s21, -8
.LBB27_183:                             ;   in Loop: Header=BB27_143 Depth=1
	s_add_u32 s16, s4, 8
	s_addc_u32 s17, s5, 0
	s_cmp_gt_u32 s20, 7
	s_cbranch_scc1 .LBB27_187
; %bb.184:                              ;   in Loop: Header=BB27_143 Depth=1
	s_cmp_eq_u32 s20, 0
	s_cbranch_scc1 .LBB27_188
; %bb.185:                              ;   in Loop: Header=BB27_143 Depth=1
	v_mov_b32_e32 v22, 0
	s_mov_b64 s[16:17], 0
	v_mov_b32_e32 v23, 0
	s_mov_b64 s[18:19], 0
.LBB27_186:                             ;   Parent Loop BB27_143 Depth=1
                                        ; =>  This Inner Loop Header: Depth=2
	s_add_u32 s22, s4, s18
	s_addc_u32 s23, s5, s19
	global_load_ubyte v2, v3, s[22:23]
	s_add_u32 s18, s18, 1
	s_addc_u32 s19, s19, 0
	s_waitcnt vmcnt(0)
	v_and_b32_e32 v2, 0xffff, v2
	v_lshlrev_b64 v[10:11], s16, v[2:3]
	s_add_u32 s16, s16, 8
	s_addc_u32 s17, s17, 0
	v_or_b32_e32 v22, v10, v22
	s_cmp_lg_u32 s20, s18
	v_or_b32_e32 v23, v11, v23
	s_cbranch_scc1 .LBB27_186
	s_branch .LBB27_189
.LBB27_187:                             ;   in Loop: Header=BB27_143 Depth=1
                                        ; implicit-def: $vgpr22_vgpr23
	s_mov_b32 s21, 0
	s_branch .LBB27_190
.LBB27_188:                             ;   in Loop: Header=BB27_143 Depth=1
	v_mov_b32_e32 v22, 0
	v_mov_b32_e32 v23, 0
.LBB27_189:                             ;   in Loop: Header=BB27_143 Depth=1
	s_mov_b64 s[16:17], s[4:5]
	s_mov_b32 s21, 0
	s_cbranch_execnz .LBB27_191
.LBB27_190:                             ;   in Loop: Header=BB27_143 Depth=1
	global_load_dwordx2 v[22:23], v3, s[4:5]
	s_add_i32 s21, s20, -8
.LBB27_191:                             ;   in Loop: Header=BB27_143 Depth=1
	s_cmp_gt_u32 s21, 7
	s_cbranch_scc1 .LBB27_195
; %bb.192:                              ;   in Loop: Header=BB27_143 Depth=1
	s_cmp_eq_u32 s21, 0
	s_cbranch_scc1 .LBB27_196
; %bb.193:                              ;   in Loop: Header=BB27_143 Depth=1
	v_mov_b32_e32 v24, 0
	s_mov_b64 s[4:5], 0
	v_mov_b32_e32 v25, 0
	s_mov_b64 s[18:19], s[16:17]
.LBB27_194:                             ;   Parent Loop BB27_143 Depth=1
                                        ; =>  This Inner Loop Header: Depth=2
	global_load_ubyte v2, v3, s[18:19]
	s_add_i32 s21, s21, -1
	s_waitcnt vmcnt(0)
	v_and_b32_e32 v2, 0xffff, v2
	v_lshlrev_b64 v[10:11], s4, v[2:3]
	s_add_u32 s4, s4, 8
	s_addc_u32 s5, s5, 0
	s_add_u32 s18, s18, 1
	s_addc_u32 s19, s19, 0
	v_or_b32_e32 v24, v10, v24
	s_cmp_lg_u32 s21, 0
	v_or_b32_e32 v25, v11, v25
	s_cbranch_scc1 .LBB27_194
	s_branch .LBB27_197
.LBB27_195:                             ;   in Loop: Header=BB27_143 Depth=1
	s_branch .LBB27_198
.LBB27_196:                             ;   in Loop: Header=BB27_143 Depth=1
	v_mov_b32_e32 v24, 0
	v_mov_b32_e32 v25, 0
.LBB27_197:                             ;   in Loop: Header=BB27_143 Depth=1
	s_cbranch_execnz .LBB27_199
.LBB27_198:                             ;   in Loop: Header=BB27_143 Depth=1
	global_load_dwordx2 v[24:25], v3, s[16:17]
.LBB27_199:                             ;   in Loop: Header=BB27_143 Depth=1
	v_readfirstlane_b32 s4, v34
	v_mov_b32_e32 v10, 0
	v_mov_b32_e32 v11, 0
	v_cmp_eq_u32_e64 s[4:5], s4, v34
	s_and_saveexec_b64 s[16:17], s[4:5]
	s_cbranch_execz .LBB27_205
; %bb.200:                              ;   in Loop: Header=BB27_143 Depth=1
	global_load_dwordx2 v[28:29], v3, s[10:11] offset:24 glc
	s_waitcnt vmcnt(0)
	buffer_wbinvl1_vol
	global_load_dwordx2 v[10:11], v3, s[10:11] offset:40
	global_load_dwordx2 v[26:27], v3, s[10:11]
	s_waitcnt vmcnt(1)
	v_and_b32_e32 v2, v10, v28
	v_and_b32_e32 v10, v11, v29
	v_mul_lo_u32 v10, v10, 24
	v_mul_hi_u32 v11, v2, 24
	v_mul_lo_u32 v2, v2, 24
	v_add_u32_e32 v11, v11, v10
	s_waitcnt vmcnt(0)
	v_add_co_u32_e32 v10, vcc, v26, v2
	v_addc_co_u32_e32 v11, vcc, v27, v11, vcc
	global_load_dwordx2 v[26:27], v[10:11], off glc
	s_waitcnt vmcnt(0)
	global_atomic_cmpswap_x2 v[10:11], v3, v[26:29], s[10:11] offset:24 glc
	s_waitcnt vmcnt(0)
	buffer_wbinvl1_vol
	v_cmp_ne_u64_e32 vcc, v[10:11], v[28:29]
	s_and_saveexec_b64 s[18:19], vcc
	s_cbranch_execz .LBB27_204
; %bb.201:                              ;   in Loop: Header=BB27_143 Depth=1
	s_mov_b64 s[20:21], 0
.LBB27_202:                             ;   Parent Loop BB27_143 Depth=1
                                        ; =>  This Inner Loop Header: Depth=2
	s_sleep 1
	global_load_dwordx2 v[26:27], v3, s[10:11] offset:40
	global_load_dwordx2 v[30:31], v3, s[10:11]
	v_mov_b32_e32 v29, v11
	v_mov_b32_e32 v28, v10
	s_waitcnt vmcnt(1)
	v_and_b32_e32 v2, v26, v28
	s_waitcnt vmcnt(0)
	v_mad_u64_u32 v[10:11], s[22:23], v2, 24, v[30:31]
	v_and_b32_e32 v26, v27, v29
	v_mov_b32_e32 v2, v11
	v_mad_u64_u32 v[26:27], s[22:23], v26, 24, v[2:3]
	v_mov_b32_e32 v11, v26
	global_load_dwordx2 v[26:27], v[10:11], off glc
	s_waitcnt vmcnt(0)
	global_atomic_cmpswap_x2 v[10:11], v3, v[26:29], s[10:11] offset:24 glc
	s_waitcnt vmcnt(0)
	buffer_wbinvl1_vol
	v_cmp_eq_u64_e32 vcc, v[10:11], v[28:29]
	s_or_b64 s[20:21], vcc, s[20:21]
	s_andn2_b64 exec, exec, s[20:21]
	s_cbranch_execnz .LBB27_202
; %bb.203:                              ;   in Loop: Header=BB27_143 Depth=1
	s_or_b64 exec, exec, s[20:21]
.LBB27_204:                             ;   in Loop: Header=BB27_143 Depth=1
	s_or_b64 exec, exec, s[18:19]
.LBB27_205:                             ;   in Loop: Header=BB27_143 Depth=1
	s_or_b64 exec, exec, s[16:17]
	global_load_dwordx2 v[30:31], v3, s[10:11] offset:40
	global_load_dwordx4 v[26:29], v3, s[10:11]
	v_readfirstlane_b32 s17, v11
	v_readfirstlane_b32 s16, v10
	s_mov_b64 s[18:19], exec
	s_waitcnt vmcnt(1)
	v_readfirstlane_b32 s20, v30
	v_readfirstlane_b32 s21, v31
	s_and_b64 s[20:21], s[20:21], s[16:17]
	s_mul_i32 s22, s21, 24
	s_mul_hi_u32 s23, s20, 24
	s_mul_i32 s24, s20, 24
	s_add_i32 s22, s23, s22
	v_mov_b32_e32 v2, s22
	s_waitcnt vmcnt(0)
	v_add_co_u32_e32 v30, vcc, s24, v26
	v_addc_co_u32_e32 v31, vcc, v27, v2, vcc
	s_and_saveexec_b64 s[22:23], s[4:5]
	s_cbranch_execz .LBB27_207
; %bb.206:                              ;   in Loop: Header=BB27_143 Depth=1
	v_mov_b32_e32 v10, s18
	v_mov_b32_e32 v11, s19
	global_store_dwordx4 v[30:31], v[10:13], off offset:8
.LBB27_207:                             ;   in Loop: Header=BB27_143 Depth=1
	s_or_b64 exec, exec, s[22:23]
	s_lshl_b64 s[18:19], s[20:21], 12
	v_mov_b32_e32 v2, s19
	v_add_co_u32_e32 v28, vcc, s18, v28
	v_addc_co_u32_e32 v29, vcc, v29, v2, vcc
	v_cmp_lt_u64_e64 vcc, s[12:13], 57
	s_lshl_b32 s18, s14, 2
	v_cndmask_b32_e32 v2, 0, v32, vcc
	s_add_i32 s18, s18, 28
	v_and_b32_e32 v6, 0xffffff1f, v6
	s_and_b32 s18, s18, 0x1e0
	v_or_b32_e32 v2, v6, v2
	v_or_b32_e32 v6, s18, v2
	v_readfirstlane_b32 s18, v28
	v_readfirstlane_b32 s19, v29
	s_nop 4
	global_store_dwordx4 v35, v[6:9], s[18:19]
	global_store_dwordx4 v35, v[14:17], s[18:19] offset:16
	global_store_dwordx4 v35, v[18:21], s[18:19] offset:32
	;; [unrolled: 1-line block ×3, first 2 shown]
	s_and_saveexec_b64 s[18:19], s[4:5]
	s_cbranch_execz .LBB27_215
; %bb.208:                              ;   in Loop: Header=BB27_143 Depth=1
	global_load_dwordx2 v[16:17], v3, s[10:11] offset:32 glc
	global_load_dwordx2 v[6:7], v3, s[10:11] offset:40
	v_mov_b32_e32 v14, s16
	v_mov_b32_e32 v15, s17
	s_waitcnt vmcnt(0)
	v_readfirstlane_b32 s20, v6
	v_readfirstlane_b32 s21, v7
	s_and_b64 s[20:21], s[20:21], s[16:17]
	s_mul_i32 s21, s21, 24
	s_mul_hi_u32 s22, s20, 24
	s_mul_i32 s20, s20, 24
	s_add_i32 s21, s22, s21
	v_mov_b32_e32 v2, s21
	v_add_co_u32_e32 v10, vcc, s20, v26
	v_addc_co_u32_e32 v11, vcc, v27, v2, vcc
	global_store_dwordx2 v[10:11], v[16:17], off
	s_waitcnt vmcnt(0)
	global_atomic_cmpswap_x2 v[8:9], v3, v[14:17], s[10:11] offset:32 glc
	s_waitcnt vmcnt(0)
	v_cmp_ne_u64_e32 vcc, v[8:9], v[16:17]
	s_and_saveexec_b64 s[20:21], vcc
	s_cbranch_execz .LBB27_211
; %bb.209:                              ;   in Loop: Header=BB27_143 Depth=1
	s_mov_b64 s[22:23], 0
.LBB27_210:                             ;   Parent Loop BB27_143 Depth=1
                                        ; =>  This Inner Loop Header: Depth=2
	s_sleep 1
	global_store_dwordx2 v[10:11], v[8:9], off
	v_mov_b32_e32 v6, s16
	v_mov_b32_e32 v7, s17
	s_waitcnt vmcnt(0)
	global_atomic_cmpswap_x2 v[6:7], v3, v[6:9], s[10:11] offset:32 glc
	s_waitcnt vmcnt(0)
	v_cmp_eq_u64_e32 vcc, v[6:7], v[8:9]
	v_mov_b32_e32 v9, v7
	s_or_b64 s[22:23], vcc, s[22:23]
	v_mov_b32_e32 v8, v6
	s_andn2_b64 exec, exec, s[22:23]
	s_cbranch_execnz .LBB27_210
.LBB27_211:                             ;   in Loop: Header=BB27_143 Depth=1
	s_or_b64 exec, exec, s[20:21]
	global_load_dwordx2 v[6:7], v3, s[10:11] offset:16
	s_mov_b64 s[22:23], exec
	v_mbcnt_lo_u32_b32 v2, s22, 0
	v_mbcnt_hi_u32_b32 v2, s23, v2
	v_cmp_eq_u32_e32 vcc, 0, v2
	s_and_saveexec_b64 s[20:21], vcc
	s_cbranch_execz .LBB27_213
; %bb.212:                              ;   in Loop: Header=BB27_143 Depth=1
	s_bcnt1_i32_b64 s22, s[22:23]
	v_mov_b32_e32 v2, s22
	s_waitcnt vmcnt(0)
	global_atomic_add_x2 v[6:7], v[2:3], off offset:8
.LBB27_213:                             ;   in Loop: Header=BB27_143 Depth=1
	s_or_b64 exec, exec, s[20:21]
	s_waitcnt vmcnt(0)
	global_load_dwordx2 v[8:9], v[6:7], off offset:16
	s_waitcnt vmcnt(0)
	v_cmp_eq_u64_e32 vcc, 0, v[8:9]
	s_cbranch_vccnz .LBB27_215
; %bb.214:                              ;   in Loop: Header=BB27_143 Depth=1
	global_load_dword v2, v[6:7], off offset:24
	s_waitcnt vmcnt(0)
	v_readfirstlane_b32 s20, v2
	s_and_b32 m0, s20, 0xffffff
	global_store_dwordx2 v[8:9], v[2:3], off
	s_sendmsg sendmsg(MSG_INTERRUPT)
.LBB27_215:                             ;   in Loop: Header=BB27_143 Depth=1
	s_or_b64 exec, exec, s[18:19]
	v_add_co_u32_e32 v6, vcc, v28, v35
	v_addc_co_u32_e32 v7, vcc, 0, v29, vcc
	s_branch .LBB27_219
.LBB27_216:                             ;   in Loop: Header=BB27_219 Depth=2
	s_or_b64 exec, exec, s[18:19]
	v_readfirstlane_b32 s18, v2
	s_cmp_eq_u32 s18, 0
	s_cbranch_scc1 .LBB27_218
; %bb.217:                              ;   in Loop: Header=BB27_219 Depth=2
	s_sleep 1
	s_cbranch_execnz .LBB27_219
	s_branch .LBB27_221
.LBB27_218:                             ;   in Loop: Header=BB27_143 Depth=1
	s_branch .LBB27_221
.LBB27_219:                             ;   Parent Loop BB27_143 Depth=1
                                        ; =>  This Inner Loop Header: Depth=2
	v_mov_b32_e32 v2, 1
	s_and_saveexec_b64 s[18:19], s[4:5]
	s_cbranch_execz .LBB27_216
; %bb.220:                              ;   in Loop: Header=BB27_219 Depth=2
	global_load_dword v2, v[30:31], off offset:20 glc
	s_waitcnt vmcnt(0)
	buffer_wbinvl1_vol
	v_and_b32_e32 v2, 1, v2
	s_branch .LBB27_216
.LBB27_221:                             ;   in Loop: Header=BB27_143 Depth=1
	global_load_dwordx2 v[6:7], v[6:7], off
	s_and_saveexec_b64 s[18:19], s[4:5]
	s_cbranch_execz .LBB27_142
; %bb.222:                              ;   in Loop: Header=BB27_143 Depth=1
	global_load_dwordx2 v[8:9], v3, s[10:11] offset:40
	global_load_dwordx2 v[18:19], v3, s[10:11] offset:24 glc
	global_load_dwordx2 v[10:11], v3, s[10:11]
	s_waitcnt vmcnt(2)
	v_readfirstlane_b32 s20, v8
	v_readfirstlane_b32 s21, v9
	s_add_u32 s22, s20, 1
	s_addc_u32 s23, s21, 0
	s_add_u32 s4, s22, s16
	s_addc_u32 s5, s23, s17
	s_cmp_eq_u64 s[4:5], 0
	s_cselect_b32 s5, s23, s5
	s_cselect_b32 s4, s22, s4
	s_and_b64 s[16:17], s[4:5], s[20:21]
	s_mul_i32 s17, s17, 24
	s_mul_hi_u32 s20, s16, 24
	s_mul_i32 s16, s16, 24
	s_add_i32 s17, s20, s17
	v_mov_b32_e32 v2, s17
	s_waitcnt vmcnt(0)
	v_add_co_u32_e32 v14, vcc, s16, v10
	v_addc_co_u32_e32 v15, vcc, v11, v2, vcc
	v_mov_b32_e32 v16, s4
	global_store_dwordx2 v[14:15], v[18:19], off
	v_mov_b32_e32 v17, s5
	s_waitcnt vmcnt(0)
	global_atomic_cmpswap_x2 v[10:11], v3, v[16:19], s[10:11] offset:24 glc
	s_waitcnt vmcnt(0)
	v_cmp_ne_u64_e32 vcc, v[10:11], v[18:19]
	s_and_b64 exec, exec, vcc
	s_cbranch_execz .LBB27_142
; %bb.223:                              ;   in Loop: Header=BB27_143 Depth=1
	s_mov_b64 s[16:17], 0
.LBB27_224:                             ;   Parent Loop BB27_143 Depth=1
                                        ; =>  This Inner Loop Header: Depth=2
	s_sleep 1
	global_store_dwordx2 v[14:15], v[10:11], off
	v_mov_b32_e32 v8, s4
	v_mov_b32_e32 v9, s5
	s_waitcnt vmcnt(0)
	global_atomic_cmpswap_x2 v[8:9], v3, v[8:11], s[10:11] offset:24 glc
	s_waitcnt vmcnt(0)
	v_cmp_eq_u64_e32 vcc, v[8:9], v[10:11]
	v_mov_b32_e32 v11, v9
	s_or_b64 s[16:17], vcc, s[16:17]
	v_mov_b32_e32 v10, v8
	s_andn2_b64 exec, exec, s[16:17]
	s_cbranch_execnz .LBB27_224
	s_branch .LBB27_142
.LBB27_225:
                                        ; implicit-def: $vgpr6_vgpr7
	s_cbranch_execnz .LBB27_227
	s_branch .LBB27_253
.LBB27_226:
	s_branch .LBB27_253
.LBB27_227:
	v_readfirstlane_b32 s4, v34
	v_mov_b32_e32 v10, 0
	v_mov_b32_e32 v11, 0
	v_cmp_eq_u32_e64 s[4:5], s4, v34
	s_and_saveexec_b64 s[6:7], s[4:5]
	s_cbranch_execz .LBB27_233
; %bb.228:
	v_mov_b32_e32 v2, 0
	global_load_dwordx2 v[8:9], v2, s[10:11] offset:24 glc
	s_waitcnt vmcnt(0)
	buffer_wbinvl1_vol
	global_load_dwordx2 v[6:7], v2, s[10:11] offset:40
	global_load_dwordx2 v[10:11], v2, s[10:11]
	s_waitcnt vmcnt(1)
	v_and_b32_e32 v3, v6, v8
	v_and_b32_e32 v6, v7, v9
	v_mul_lo_u32 v6, v6, 24
	v_mul_hi_u32 v7, v3, 24
	v_mul_lo_u32 v3, v3, 24
	v_add_u32_e32 v7, v7, v6
	s_waitcnt vmcnt(0)
	v_add_co_u32_e32 v6, vcc, v10, v3
	v_addc_co_u32_e32 v7, vcc, v11, v7, vcc
	global_load_dwordx2 v[6:7], v[6:7], off glc
	s_waitcnt vmcnt(0)
	global_atomic_cmpswap_x2 v[10:11], v2, v[6:9], s[10:11] offset:24 glc
	s_waitcnt vmcnt(0)
	buffer_wbinvl1_vol
	v_cmp_ne_u64_e32 vcc, v[10:11], v[8:9]
	s_and_saveexec_b64 s[12:13], vcc
	s_cbranch_execz .LBB27_232
; %bb.229:
	s_mov_b64 s[14:15], 0
.LBB27_230:                             ; =>This Inner Loop Header: Depth=1
	s_sleep 1
	global_load_dwordx2 v[6:7], v2, s[10:11] offset:40
	global_load_dwordx2 v[12:13], v2, s[10:11]
	v_mov_b32_e32 v8, v10
	v_mov_b32_e32 v9, v11
	s_waitcnt vmcnt(1)
	v_and_b32_e32 v3, v6, v8
	s_waitcnt vmcnt(0)
	v_mad_u64_u32 v[10:11], s[16:17], v3, 24, v[12:13]
	v_and_b32_e32 v6, v7, v9
	v_mov_b32_e32 v3, v11
	v_mad_u64_u32 v[6:7], s[16:17], v6, 24, v[3:4]
	v_mov_b32_e32 v11, v6
	global_load_dwordx2 v[6:7], v[10:11], off glc
	s_waitcnt vmcnt(0)
	global_atomic_cmpswap_x2 v[10:11], v2, v[6:9], s[10:11] offset:24 glc
	s_waitcnt vmcnt(0)
	buffer_wbinvl1_vol
	v_cmp_eq_u64_e32 vcc, v[10:11], v[8:9]
	s_or_b64 s[14:15], vcc, s[14:15]
	s_andn2_b64 exec, exec, s[14:15]
	s_cbranch_execnz .LBB27_230
; %bb.231:
	s_or_b64 exec, exec, s[14:15]
.LBB27_232:
	s_or_b64 exec, exec, s[12:13]
.LBB27_233:
	s_or_b64 exec, exec, s[6:7]
	v_mov_b32_e32 v2, 0
	global_load_dwordx2 v[12:13], v2, s[10:11] offset:40
	global_load_dwordx4 v[6:9], v2, s[10:11]
	v_readfirstlane_b32 s7, v11
	v_readfirstlane_b32 s6, v10
	s_mov_b64 s[12:13], exec
	s_waitcnt vmcnt(1)
	v_readfirstlane_b32 s14, v12
	v_readfirstlane_b32 s15, v13
	s_and_b64 s[14:15], s[14:15], s[6:7]
	s_mul_i32 s16, s15, 24
	s_mul_hi_u32 s17, s14, 24
	s_mul_i32 s18, s14, 24
	s_add_i32 s16, s17, s16
	v_mov_b32_e32 v3, s16
	s_waitcnt vmcnt(0)
	v_add_co_u32_e32 v10, vcc, s18, v6
	v_addc_co_u32_e32 v11, vcc, v7, v3, vcc
	s_and_saveexec_b64 s[16:17], s[4:5]
	s_cbranch_execz .LBB27_235
; %bb.234:
	v_mov_b32_e32 v12, s12
	v_mov_b32_e32 v13, s13
	;; [unrolled: 1-line block ×4, first 2 shown]
	global_store_dwordx4 v[10:11], v[12:15], off offset:8
.LBB27_235:
	s_or_b64 exec, exec, s[16:17]
	s_lshl_b64 s[12:13], s[14:15], 12
	v_mov_b32_e32 v3, s13
	v_add_co_u32_e32 v12, vcc, s12, v8
	v_addc_co_u32_e32 v13, vcc, v9, v3, vcc
	s_movk_i32 s12, 0xff1f
	v_and_or_b32 v0, v0, s12, 32
	s_mov_b32 s12, 0
	v_mov_b32_e32 v3, v2
	v_readfirstlane_b32 s16, v12
	v_readfirstlane_b32 s17, v13
	v_add_co_u32_e32 v8, vcc, v12, v35
	s_mov_b32 s13, s12
	s_mov_b32 s14, s12
	;; [unrolled: 1-line block ×3, first 2 shown]
	s_nop 0
	global_store_dwordx4 v35, v[0:3], s[16:17]
	v_addc_co_u32_e32 v9, vcc, 0, v13, vcc
	v_mov_b32_e32 v0, s12
	v_mov_b32_e32 v1, s13
	;; [unrolled: 1-line block ×4, first 2 shown]
	global_store_dwordx4 v35, v[0:3], s[16:17] offset:16
	global_store_dwordx4 v35, v[0:3], s[16:17] offset:32
	;; [unrolled: 1-line block ×3, first 2 shown]
	s_and_saveexec_b64 s[12:13], s[4:5]
	s_cbranch_execz .LBB27_243
; %bb.236:
	v_mov_b32_e32 v12, 0
	global_load_dwordx2 v[15:16], v12, s[10:11] offset:32 glc
	global_load_dwordx2 v[0:1], v12, s[10:11] offset:40
	v_mov_b32_e32 v13, s6
	v_mov_b32_e32 v14, s7
	s_waitcnt vmcnt(0)
	v_readfirstlane_b32 s14, v0
	v_readfirstlane_b32 s15, v1
	s_and_b64 s[14:15], s[14:15], s[6:7]
	s_mul_i32 s15, s15, 24
	s_mul_hi_u32 s16, s14, 24
	s_mul_i32 s14, s14, 24
	s_add_i32 s15, s16, s15
	v_mov_b32_e32 v0, s15
	v_add_co_u32_e32 v6, vcc, s14, v6
	v_addc_co_u32_e32 v7, vcc, v7, v0, vcc
	global_store_dwordx2 v[6:7], v[15:16], off
	s_waitcnt vmcnt(0)
	global_atomic_cmpswap_x2 v[2:3], v12, v[13:16], s[10:11] offset:32 glc
	s_waitcnt vmcnt(0)
	v_cmp_ne_u64_e32 vcc, v[2:3], v[15:16]
	s_and_saveexec_b64 s[14:15], vcc
	s_cbranch_execz .LBB27_239
; %bb.237:
	s_mov_b64 s[16:17], 0
.LBB27_238:                             ; =>This Inner Loop Header: Depth=1
	s_sleep 1
	global_store_dwordx2 v[6:7], v[2:3], off
	v_mov_b32_e32 v0, s6
	v_mov_b32_e32 v1, s7
	s_waitcnt vmcnt(0)
	global_atomic_cmpswap_x2 v[0:1], v12, v[0:3], s[10:11] offset:32 glc
	s_waitcnt vmcnt(0)
	v_cmp_eq_u64_e32 vcc, v[0:1], v[2:3]
	v_mov_b32_e32 v3, v1
	s_or_b64 s[16:17], vcc, s[16:17]
	v_mov_b32_e32 v2, v0
	s_andn2_b64 exec, exec, s[16:17]
	s_cbranch_execnz .LBB27_238
.LBB27_239:
	s_or_b64 exec, exec, s[14:15]
	v_mov_b32_e32 v3, 0
	global_load_dwordx2 v[0:1], v3, s[10:11] offset:16
	s_mov_b64 s[14:15], exec
	v_mbcnt_lo_u32_b32 v2, s14, 0
	v_mbcnt_hi_u32_b32 v2, s15, v2
	v_cmp_eq_u32_e32 vcc, 0, v2
	s_and_saveexec_b64 s[16:17], vcc
	s_cbranch_execz .LBB27_241
; %bb.240:
	s_bcnt1_i32_b64 s14, s[14:15]
	v_mov_b32_e32 v2, s14
	s_waitcnt vmcnt(0)
	global_atomic_add_x2 v[0:1], v[2:3], off offset:8
.LBB27_241:
	s_or_b64 exec, exec, s[16:17]
	s_waitcnt vmcnt(0)
	global_load_dwordx2 v[2:3], v[0:1], off offset:16
	s_waitcnt vmcnt(0)
	v_cmp_eq_u64_e32 vcc, 0, v[2:3]
	s_cbranch_vccnz .LBB27_243
; %bb.242:
	global_load_dword v0, v[0:1], off offset:24
	v_mov_b32_e32 v1, 0
	s_waitcnt vmcnt(0)
	v_readfirstlane_b32 s14, v0
	s_and_b32 m0, s14, 0xffffff
	global_store_dwordx2 v[2:3], v[0:1], off
	s_sendmsg sendmsg(MSG_INTERRUPT)
.LBB27_243:
	s_or_b64 exec, exec, s[12:13]
	s_branch .LBB27_247
.LBB27_244:                             ;   in Loop: Header=BB27_247 Depth=1
	s_or_b64 exec, exec, s[12:13]
	v_readfirstlane_b32 s12, v0
	s_cmp_eq_u32 s12, 0
	s_cbranch_scc1 .LBB27_246
; %bb.245:                              ;   in Loop: Header=BB27_247 Depth=1
	s_sleep 1
	s_cbranch_execnz .LBB27_247
	s_branch .LBB27_249
.LBB27_246:
	s_branch .LBB27_249
.LBB27_247:                             ; =>This Inner Loop Header: Depth=1
	v_mov_b32_e32 v0, 1
	s_and_saveexec_b64 s[12:13], s[4:5]
	s_cbranch_execz .LBB27_244
; %bb.248:                              ;   in Loop: Header=BB27_247 Depth=1
	global_load_dword v0, v[10:11], off offset:20 glc
	s_waitcnt vmcnt(0)
	buffer_wbinvl1_vol
	v_and_b32_e32 v0, 1, v0
	s_branch .LBB27_244
.LBB27_249:
	global_load_dwordx2 v[6:7], v[8:9], off
	s_and_saveexec_b64 s[12:13], s[4:5]
	s_cbranch_execz .LBB27_252
; %bb.250:
	v_mov_b32_e32 v10, 0
	global_load_dwordx2 v[0:1], v10, s[10:11] offset:40
	global_load_dwordx2 v[13:14], v10, s[10:11] offset:24 glc
	global_load_dwordx2 v[2:3], v10, s[10:11]
	s_waitcnt vmcnt(2)
	v_readfirstlane_b32 s14, v0
	v_readfirstlane_b32 s15, v1
	s_add_u32 s16, s14, 1
	s_addc_u32 s17, s15, 0
	s_add_u32 s4, s16, s6
	s_addc_u32 s5, s17, s7
	s_cmp_eq_u64 s[4:5], 0
	s_cselect_b32 s5, s17, s5
	s_cselect_b32 s4, s16, s4
	s_and_b64 s[6:7], s[4:5], s[14:15]
	s_mul_i32 s7, s7, 24
	s_mul_hi_u32 s14, s6, 24
	s_mul_i32 s6, s6, 24
	s_add_i32 s7, s14, s7
	v_mov_b32_e32 v0, s7
	s_waitcnt vmcnt(0)
	v_add_co_u32_e32 v8, vcc, s6, v2
	v_addc_co_u32_e32 v9, vcc, v3, v0, vcc
	v_mov_b32_e32 v11, s4
	global_store_dwordx2 v[8:9], v[13:14], off
	v_mov_b32_e32 v12, s5
	s_waitcnt vmcnt(0)
	global_atomic_cmpswap_x2 v[2:3], v10, v[11:14], s[10:11] offset:24 glc
	s_mov_b64 s[6:7], 0
	s_waitcnt vmcnt(0)
	v_cmp_ne_u64_e32 vcc, v[2:3], v[13:14]
	s_and_b64 exec, exec, vcc
	s_cbranch_execz .LBB27_252
.LBB27_251:                             ; =>This Inner Loop Header: Depth=1
	s_sleep 1
	global_store_dwordx2 v[8:9], v[2:3], off
	v_mov_b32_e32 v0, s4
	v_mov_b32_e32 v1, s5
	s_waitcnt vmcnt(0)
	global_atomic_cmpswap_x2 v[0:1], v10, v[0:3], s[10:11] offset:24 glc
	s_waitcnt vmcnt(0)
	v_cmp_eq_u64_e32 vcc, v[0:1], v[2:3]
	v_mov_b32_e32 v3, v1
	s_or_b64 s[6:7], vcc, s[6:7]
	v_mov_b32_e32 v2, v0
	s_andn2_b64 exec, exec, s[6:7]
	s_cbranch_execnz .LBB27_251
.LBB27_252:
	s_or_b64 exec, exec, s[12:13]
.LBB27_253:
	v_readfirstlane_b32 s4, v34
	v_mov_b32_e32 v10, 0
	v_mov_b32_e32 v11, 0
	v_cmp_eq_u32_e64 s[4:5], s4, v34
	s_and_saveexec_b64 s[6:7], s[4:5]
	s_cbranch_execz .LBB27_259
; %bb.254:
	s_waitcnt vmcnt(0)
	v_mov_b32_e32 v0, 0
	global_load_dwordx2 v[12:13], v0, s[10:11] offset:24 glc
	s_waitcnt vmcnt(0)
	buffer_wbinvl1_vol
	global_load_dwordx2 v[1:2], v0, s[10:11] offset:40
	global_load_dwordx2 v[8:9], v0, s[10:11]
	s_waitcnt vmcnt(1)
	v_and_b32_e32 v1, v1, v12
	v_and_b32_e32 v2, v2, v13
	v_mul_lo_u32 v2, v2, 24
	v_mul_hi_u32 v3, v1, 24
	v_mul_lo_u32 v1, v1, 24
	v_add_u32_e32 v2, v3, v2
	s_waitcnt vmcnt(0)
	v_add_co_u32_e32 v1, vcc, v8, v1
	v_addc_co_u32_e32 v2, vcc, v9, v2, vcc
	global_load_dwordx2 v[10:11], v[1:2], off glc
	s_waitcnt vmcnt(0)
	global_atomic_cmpswap_x2 v[10:11], v0, v[10:13], s[10:11] offset:24 glc
	s_waitcnt vmcnt(0)
	buffer_wbinvl1_vol
	v_cmp_ne_u64_e32 vcc, v[10:11], v[12:13]
	s_and_saveexec_b64 s[12:13], vcc
	s_cbranch_execz .LBB27_258
; %bb.255:
	s_mov_b64 s[14:15], 0
.LBB27_256:                             ; =>This Inner Loop Header: Depth=1
	s_sleep 1
	global_load_dwordx2 v[1:2], v0, s[10:11] offset:40
	global_load_dwordx2 v[8:9], v0, s[10:11]
	v_mov_b32_e32 v13, v11
	v_mov_b32_e32 v12, v10
	s_waitcnt vmcnt(1)
	v_and_b32_e32 v1, v1, v12
	s_waitcnt vmcnt(0)
	v_mad_u64_u32 v[8:9], s[16:17], v1, 24, v[8:9]
	v_and_b32_e32 v2, v2, v13
	v_mov_b32_e32 v1, v9
	v_mad_u64_u32 v[1:2], s[16:17], v2, 24, v[1:2]
	v_mov_b32_e32 v9, v1
	global_load_dwordx2 v[10:11], v[8:9], off glc
	s_waitcnt vmcnt(0)
	global_atomic_cmpswap_x2 v[10:11], v0, v[10:13], s[10:11] offset:24 glc
	s_waitcnt vmcnt(0)
	buffer_wbinvl1_vol
	v_cmp_eq_u64_e32 vcc, v[10:11], v[12:13]
	s_or_b64 s[14:15], vcc, s[14:15]
	s_andn2_b64 exec, exec, s[14:15]
	s_cbranch_execnz .LBB27_256
; %bb.257:
	s_or_b64 exec, exec, s[14:15]
.LBB27_258:
	s_or_b64 exec, exec, s[12:13]
.LBB27_259:
	s_or_b64 exec, exec, s[6:7]
	v_mov_b32_e32 v9, 0
	global_load_dwordx2 v[12:13], v9, s[10:11] offset:40
	global_load_dwordx4 v[0:3], v9, s[10:11]
	v_readfirstlane_b32 s7, v11
	v_readfirstlane_b32 s6, v10
	s_mov_b64 s[12:13], exec
	s_waitcnt vmcnt(1)
	v_readfirstlane_b32 s14, v12
	v_readfirstlane_b32 s15, v13
	s_and_b64 s[14:15], s[14:15], s[6:7]
	s_mul_i32 s16, s15, 24
	s_mul_hi_u32 s17, s14, 24
	s_mul_i32 s18, s14, 24
	s_add_i32 s16, s17, s16
	v_mov_b32_e32 v8, s16
	s_waitcnt vmcnt(0)
	v_add_co_u32_e32 v10, vcc, s18, v0
	v_addc_co_u32_e32 v11, vcc, v1, v8, vcc
	s_and_saveexec_b64 s[16:17], s[4:5]
	s_cbranch_execz .LBB27_261
; %bb.260:
	v_mov_b32_e32 v12, s12
	v_mov_b32_e32 v13, s13
	;; [unrolled: 1-line block ×4, first 2 shown]
	global_store_dwordx4 v[10:11], v[12:15], off offset:8
.LBB27_261:
	s_or_b64 exec, exec, s[16:17]
	s_lshl_b64 s[12:13], s[14:15], 12
	v_mov_b32_e32 v8, s13
	v_add_co_u32_e32 v2, vcc, s12, v2
	v_addc_co_u32_e32 v3, vcc, v3, v8, vcc
	s_movk_i32 s12, 0xff1f
	v_and_or_b32 v6, v6, s12, 32
	s_mov_b32 s12, 0
	v_mov_b32_e32 v8, 0x27a
	v_readfirstlane_b32 s16, v2
	v_readfirstlane_b32 s17, v3
	v_add_co_u32_e32 v12, vcc, v2, v35
	s_mov_b32 s13, s12
	s_mov_b32 s14, s12
	s_mov_b32 s15, s12
	s_nop 0
	global_store_dwordx4 v35, v[6:9], s[16:17]
	v_addc_co_u32_e32 v13, vcc, 0, v3, vcc
	v_mov_b32_e32 v6, s12
	v_mov_b32_e32 v7, s13
	;; [unrolled: 1-line block ×4, first 2 shown]
	global_store_dwordx4 v35, v[6:9], s[16:17] offset:16
	global_store_dwordx4 v35, v[6:9], s[16:17] offset:32
	;; [unrolled: 1-line block ×3, first 2 shown]
	s_and_saveexec_b64 s[12:13], s[4:5]
	s_cbranch_execz .LBB27_269
; %bb.262:
	v_mov_b32_e32 v8, 0
	global_load_dwordx2 v[16:17], v8, s[10:11] offset:32 glc
	global_load_dwordx2 v[2:3], v8, s[10:11] offset:40
	v_mov_b32_e32 v14, s6
	v_mov_b32_e32 v15, s7
	s_waitcnt vmcnt(0)
	v_readfirstlane_b32 s14, v2
	v_readfirstlane_b32 s15, v3
	s_and_b64 s[14:15], s[14:15], s[6:7]
	s_mul_i32 s15, s15, 24
	s_mul_hi_u32 s16, s14, 24
	s_mul_i32 s14, s14, 24
	s_add_i32 s15, s16, s15
	v_mov_b32_e32 v2, s15
	v_add_co_u32_e32 v6, vcc, s14, v0
	v_addc_co_u32_e32 v7, vcc, v1, v2, vcc
	global_store_dwordx2 v[6:7], v[16:17], off
	s_waitcnt vmcnt(0)
	global_atomic_cmpswap_x2 v[2:3], v8, v[14:17], s[10:11] offset:32 glc
	s_waitcnt vmcnt(0)
	v_cmp_ne_u64_e32 vcc, v[2:3], v[16:17]
	s_and_saveexec_b64 s[14:15], vcc
	s_cbranch_execz .LBB27_265
; %bb.263:
	s_mov_b64 s[16:17], 0
.LBB27_264:                             ; =>This Inner Loop Header: Depth=1
	s_sleep 1
	global_store_dwordx2 v[6:7], v[2:3], off
	v_mov_b32_e32 v0, s6
	v_mov_b32_e32 v1, s7
	s_waitcnt vmcnt(0)
	global_atomic_cmpswap_x2 v[0:1], v8, v[0:3], s[10:11] offset:32 glc
	s_waitcnt vmcnt(0)
	v_cmp_eq_u64_e32 vcc, v[0:1], v[2:3]
	v_mov_b32_e32 v3, v1
	s_or_b64 s[16:17], vcc, s[16:17]
	v_mov_b32_e32 v2, v0
	s_andn2_b64 exec, exec, s[16:17]
	s_cbranch_execnz .LBB27_264
.LBB27_265:
	s_or_b64 exec, exec, s[14:15]
	v_mov_b32_e32 v3, 0
	global_load_dwordx2 v[0:1], v3, s[10:11] offset:16
	s_mov_b64 s[14:15], exec
	v_mbcnt_lo_u32_b32 v2, s14, 0
	v_mbcnt_hi_u32_b32 v2, s15, v2
	v_cmp_eq_u32_e32 vcc, 0, v2
	s_and_saveexec_b64 s[16:17], vcc
	s_cbranch_execz .LBB27_267
; %bb.266:
	s_bcnt1_i32_b64 s14, s[14:15]
	v_mov_b32_e32 v2, s14
	s_waitcnt vmcnt(0)
	global_atomic_add_x2 v[0:1], v[2:3], off offset:8
.LBB27_267:
	s_or_b64 exec, exec, s[16:17]
	s_waitcnt vmcnt(0)
	global_load_dwordx2 v[2:3], v[0:1], off offset:16
	s_waitcnt vmcnt(0)
	v_cmp_eq_u64_e32 vcc, 0, v[2:3]
	s_cbranch_vccnz .LBB27_269
; %bb.268:
	global_load_dword v0, v[0:1], off offset:24
	v_mov_b32_e32 v1, 0
	s_waitcnt vmcnt(0)
	v_readfirstlane_b32 s14, v0
	s_and_b32 m0, s14, 0xffffff
	global_store_dwordx2 v[2:3], v[0:1], off
	s_sendmsg sendmsg(MSG_INTERRUPT)
.LBB27_269:
	s_or_b64 exec, exec, s[12:13]
	s_branch .LBB27_273
.LBB27_270:                             ;   in Loop: Header=BB27_273 Depth=1
	s_or_b64 exec, exec, s[12:13]
	v_readfirstlane_b32 s12, v0
	s_cmp_eq_u32 s12, 0
	s_cbranch_scc1 .LBB27_272
; %bb.271:                              ;   in Loop: Header=BB27_273 Depth=1
	s_sleep 1
	s_cbranch_execnz .LBB27_273
	s_branch .LBB27_275
.LBB27_272:
	s_branch .LBB27_275
.LBB27_273:                             ; =>This Inner Loop Header: Depth=1
	v_mov_b32_e32 v0, 1
	s_and_saveexec_b64 s[12:13], s[4:5]
	s_cbranch_execz .LBB27_270
; %bb.274:                              ;   in Loop: Header=BB27_273 Depth=1
	global_load_dword v0, v[10:11], off offset:20 glc
	s_waitcnt vmcnt(0)
	buffer_wbinvl1_vol
	v_and_b32_e32 v0, 1, v0
	s_branch .LBB27_270
.LBB27_275:
	global_load_dwordx2 v[0:1], v[12:13], off
	s_and_saveexec_b64 s[12:13], s[4:5]
	s_cbranch_execz .LBB27_278
; %bb.276:
	v_mov_b32_e32 v10, 0
	global_load_dwordx2 v[2:3], v10, s[10:11] offset:40
	global_load_dwordx2 v[13:14], v10, s[10:11] offset:24 glc
	global_load_dwordx2 v[6:7], v10, s[10:11]
	s_waitcnt vmcnt(2)
	v_readfirstlane_b32 s14, v2
	v_readfirstlane_b32 s15, v3
	s_add_u32 s16, s14, 1
	s_addc_u32 s17, s15, 0
	s_add_u32 s4, s16, s6
	s_addc_u32 s5, s17, s7
	s_cmp_eq_u64 s[4:5], 0
	s_cselect_b32 s5, s17, s5
	s_cselect_b32 s4, s16, s4
	s_and_b64 s[6:7], s[4:5], s[14:15]
	s_mul_i32 s7, s7, 24
	s_mul_hi_u32 s14, s6, 24
	s_mul_i32 s6, s6, 24
	s_add_i32 s7, s14, s7
	v_mov_b32_e32 v3, s7
	s_waitcnt vmcnt(0)
	v_add_co_u32_e32 v2, vcc, s6, v6
	v_addc_co_u32_e32 v3, vcc, v7, v3, vcc
	v_mov_b32_e32 v11, s4
	global_store_dwordx2 v[2:3], v[13:14], off
	v_mov_b32_e32 v12, s5
	s_waitcnt vmcnt(0)
	global_atomic_cmpswap_x2 v[8:9], v10, v[11:14], s[10:11] offset:24 glc
	s_mov_b64 s[6:7], 0
	s_waitcnt vmcnt(0)
	v_cmp_ne_u64_e32 vcc, v[8:9], v[13:14]
	s_and_b64 exec, exec, vcc
	s_cbranch_execz .LBB27_278
.LBB27_277:                             ; =>This Inner Loop Header: Depth=1
	s_sleep 1
	global_store_dwordx2 v[2:3], v[8:9], off
	v_mov_b32_e32 v6, s4
	v_mov_b32_e32 v7, s5
	s_waitcnt vmcnt(0)
	global_atomic_cmpswap_x2 v[6:7], v10, v[6:9], s[10:11] offset:24 glc
	s_waitcnt vmcnt(0)
	v_cmp_eq_u64_e32 vcc, v[6:7], v[8:9]
	v_mov_b32_e32 v9, v7
	s_or_b64 s[6:7], vcc, s[6:7]
	v_mov_b32_e32 v8, v6
	s_andn2_b64 exec, exec, s[6:7]
	s_cbranch_execnz .LBB27_277
.LBB27_278:
	s_or_b64 exec, exec, s[12:13]
	v_mov_b32_e32 v7, v5
	s_mov_b64 s[4:5], 0
	v_mov_b32_e32 v6, v4
.LBB27_279:                             ; =>This Inner Loop Header: Depth=1
	global_load_ubyte v8, v[6:7], off
	v_add_co_u32_e32 v2, vcc, 1, v6
	v_addc_co_u32_e32 v3, vcc, 0, v7, vcc
	v_mov_b32_e32 v7, v3
	v_mov_b32_e32 v6, v2
	s_waitcnt vmcnt(0)
	v_cmp_eq_u16_e32 vcc, 0, v8
	s_or_b64 s[4:5], vcc, s[4:5]
	s_andn2_b64 exec, exec, s[4:5]
	s_cbranch_execnz .LBB27_279
; %bb.280:
	s_or_b64 exec, exec, s[4:5]
	v_cmp_ne_u64_e32 vcc, 0, v[4:5]
	s_mov_b64 s[12:13], 0
	s_and_saveexec_b64 s[4:5], vcc
	s_xor_b64 s[6:7], exec, s[4:5]
	s_cbranch_execz .LBB27_366
; %bb.281:
	v_sub_u32_e32 v26, v2, v4
	v_ashrrev_i32_e32 v27, 31, v26
	v_and_b32_e32 v36, 2, v0
	v_mov_b32_e32 v29, 0
	v_and_b32_e32 v0, -3, v0
	s_mov_b32 s22, 0
	s_movk_i32 s23, 0x1e0
	v_mov_b32_e32 v8, 2
	v_mov_b32_e32 v9, 1
	s_branch .LBB27_283
.LBB27_282:                             ;   in Loop: Header=BB27_283 Depth=1
	s_or_b64 exec, exec, s[16:17]
	v_sub_co_u32_e32 v26, vcc, v26, v30
	v_subb_co_u32_e32 v27, vcc, v27, v31, vcc
	v_cmp_eq_u64_e32 vcc, 0, v[26:27]
	s_or_b64 s[12:13], vcc, s[12:13]
	v_add_co_u32_e32 v4, vcc, v4, v30
	v_addc_co_u32_e32 v5, vcc, v5, v31, vcc
	s_andn2_b64 exec, exec, s[12:13]
	s_cbranch_execz .LBB27_365
.LBB27_283:                             ; =>This Loop Header: Depth=1
                                        ;     Child Loop BB27_286 Depth 2
                                        ;     Child Loop BB27_294 Depth 2
	;; [unrolled: 1-line block ×11, first 2 shown]
	v_cmp_gt_u64_e32 vcc, 56, v[26:27]
	v_add_co_u32_e64 v12, s[4:5], 8, v4
	v_cndmask_b32_e32 v31, 0, v27, vcc
	v_cndmask_b32_e32 v30, 56, v26, vcc
	v_cmp_gt_u64_e32 vcc, 8, v[26:27]
	v_addc_co_u32_e64 v13, s[4:5], 0, v5, s[4:5]
	s_and_saveexec_b64 s[4:5], vcc
	s_xor_b64 s[4:5], exec, s[4:5]
	s_cbranch_execz .LBB27_289
; %bb.284:                              ;   in Loop: Header=BB27_283 Depth=1
	v_mov_b32_e32 v2, 0
	v_cmp_ne_u64_e32 vcc, 0, v[26:27]
	v_mov_b32_e32 v3, 0
	s_and_saveexec_b64 s[14:15], vcc
	s_cbranch_execz .LBB27_288
; %bb.285:                              ;   in Loop: Header=BB27_283 Depth=1
	v_lshlrev_b64 v[6:7], 3, v[30:31]
	v_mov_b32_e32 v2, 0
	v_mov_b32_e32 v11, v5
	s_mov_b64 s[16:17], 0
	v_mov_b32_e32 v3, 0
	v_mov_b32_e32 v10, v4
	s_mov_b64 s[18:19], 0
.LBB27_286:                             ;   Parent Loop BB27_283 Depth=1
                                        ; =>  This Inner Loop Header: Depth=2
	global_load_ubyte v7, v[10:11], off
	v_mov_b32_e32 v13, s22
	v_add_co_u32_e32 v10, vcc, 1, v10
	v_addc_co_u32_e32 v11, vcc, 0, v11, vcc
	s_waitcnt vmcnt(0)
	v_and_b32_e32 v12, 0xffff, v7
	v_lshlrev_b64 v[12:13], s18, v[12:13]
	s_add_u32 s18, s18, 8
	s_addc_u32 s19, s19, 0
	v_cmp_eq_u32_e32 vcc, s18, v6
	v_or_b32_e32 v3, v13, v3
	s_or_b64 s[16:17], vcc, s[16:17]
	v_or_b32_e32 v2, v12, v2
	s_andn2_b64 exec, exec, s[16:17]
	s_cbranch_execnz .LBB27_286
; %bb.287:                              ;   in Loop: Header=BB27_283 Depth=1
	s_or_b64 exec, exec, s[16:17]
.LBB27_288:                             ;   in Loop: Header=BB27_283 Depth=1
	s_or_b64 exec, exec, s[14:15]
	v_mov_b32_e32 v13, v5
	v_mov_b32_e32 v12, v4
.LBB27_289:                             ;   in Loop: Header=BB27_283 Depth=1
	s_or_saveexec_b64 s[4:5], s[4:5]
	v_mov_b32_e32 v14, 0
	s_xor_b64 exec, exec, s[4:5]
	s_cbranch_execz .LBB27_291
; %bb.290:                              ;   in Loop: Header=BB27_283 Depth=1
	global_load_dwordx2 v[2:3], v[4:5], off
	v_add_u32_e32 v14, -8, v30
.LBB27_291:                             ;   in Loop: Header=BB27_283 Depth=1
	s_or_b64 exec, exec, s[4:5]
	v_add_co_u32_e64 v6, s[4:5], 8, v12
	v_cmp_gt_u32_e32 vcc, 8, v14
	v_addc_co_u32_e64 v7, s[4:5], 0, v13, s[4:5]
                                        ; implicit-def: $vgpr10_vgpr11
	s_and_saveexec_b64 s[4:5], vcc
	s_xor_b64 s[4:5], exec, s[4:5]
	s_cbranch_execz .LBB27_297
; %bb.292:                              ;   in Loop: Header=BB27_283 Depth=1
	v_mov_b32_e32 v10, 0
	v_mov_b32_e32 v11, 0
	v_cmp_ne_u32_e32 vcc, 0, v14
	s_and_saveexec_b64 s[14:15], vcc
	s_cbranch_execz .LBB27_296
; %bb.293:                              ;   in Loop: Header=BB27_283 Depth=1
	v_mov_b32_e32 v10, 0
	s_mov_b64 s[16:17], 0
	v_mov_b32_e32 v11, 0
	s_mov_b64 s[18:19], 0
	s_mov_b64 s[20:21], 0
.LBB27_294:                             ;   Parent Loop BB27_283 Depth=1
                                        ; =>  This Inner Loop Header: Depth=2
	v_mov_b32_e32 v7, s21
	v_add_co_u32_e32 v6, vcc, s20, v12
	v_addc_co_u32_e32 v7, vcc, v13, v7, vcc
	global_load_ubyte v6, v[6:7], off
	s_add_u32 s20, s20, 1
	v_mov_b32_e32 v7, s22
	s_addc_u32 s21, s21, 0
	v_cmp_eq_u32_e32 vcc, s20, v14
	s_waitcnt vmcnt(0)
	v_and_b32_e32 v6, 0xffff, v6
	v_lshlrev_b64 v[6:7], s18, v[6:7]
	s_add_u32 s18, s18, 8
	s_addc_u32 s19, s19, 0
	v_or_b32_e32 v11, v7, v11
	s_or_b64 s[16:17], vcc, s[16:17]
	v_or_b32_e32 v10, v6, v10
	s_andn2_b64 exec, exec, s[16:17]
	s_cbranch_execnz .LBB27_294
; %bb.295:                              ;   in Loop: Header=BB27_283 Depth=1
	s_or_b64 exec, exec, s[16:17]
.LBB27_296:                             ;   in Loop: Header=BB27_283 Depth=1
	s_or_b64 exec, exec, s[14:15]
	v_mov_b32_e32 v6, v12
	v_mov_b32_e32 v7, v13
                                        ; implicit-def: $vgpr14
.LBB27_297:                             ;   in Loop: Header=BB27_283 Depth=1
	s_or_saveexec_b64 s[4:5], s[4:5]
	v_mov_b32_e32 v15, 0
	s_xor_b64 exec, exec, s[4:5]
	s_cbranch_execz .LBB27_299
; %bb.298:                              ;   in Loop: Header=BB27_283 Depth=1
	global_load_dwordx2 v[10:11], v[12:13], off
	v_add_u32_e32 v15, -8, v14
.LBB27_299:                             ;   in Loop: Header=BB27_283 Depth=1
	s_or_b64 exec, exec, s[4:5]
	v_add_co_u32_e64 v16, s[4:5], 8, v6
	v_cmp_gt_u32_e32 vcc, 8, v15
	v_addc_co_u32_e64 v17, s[4:5], 0, v7, s[4:5]
	s_and_saveexec_b64 s[4:5], vcc
	s_xor_b64 s[4:5], exec, s[4:5]
	s_cbranch_execz .LBB27_305
; %bb.300:                              ;   in Loop: Header=BB27_283 Depth=1
	v_mov_b32_e32 v12, 0
	v_mov_b32_e32 v13, 0
	v_cmp_ne_u32_e32 vcc, 0, v15
	s_and_saveexec_b64 s[14:15], vcc
	s_cbranch_execz .LBB27_304
; %bb.301:                              ;   in Loop: Header=BB27_283 Depth=1
	v_mov_b32_e32 v12, 0
	s_mov_b64 s[16:17], 0
	v_mov_b32_e32 v13, 0
	s_mov_b64 s[18:19], 0
	s_mov_b64 s[20:21], 0
.LBB27_302:                             ;   Parent Loop BB27_283 Depth=1
                                        ; =>  This Inner Loop Header: Depth=2
	v_mov_b32_e32 v14, s21
	v_add_co_u32_e32 v16, vcc, s20, v6
	v_addc_co_u32_e32 v17, vcc, v7, v14, vcc
	global_load_ubyte v14, v[16:17], off
	s_add_u32 s20, s20, 1
	v_mov_b32_e32 v17, s22
	s_addc_u32 s21, s21, 0
	v_cmp_eq_u32_e32 vcc, s20, v15
	s_waitcnt vmcnt(0)
	v_and_b32_e32 v16, 0xffff, v14
	v_lshlrev_b64 v[16:17], s18, v[16:17]
	s_add_u32 s18, s18, 8
	s_addc_u32 s19, s19, 0
	v_or_b32_e32 v13, v17, v13
	s_or_b64 s[16:17], vcc, s[16:17]
	v_or_b32_e32 v12, v16, v12
	s_andn2_b64 exec, exec, s[16:17]
	s_cbranch_execnz .LBB27_302
; %bb.303:                              ;   in Loop: Header=BB27_283 Depth=1
	s_or_b64 exec, exec, s[16:17]
.LBB27_304:                             ;   in Loop: Header=BB27_283 Depth=1
	s_or_b64 exec, exec, s[14:15]
	v_mov_b32_e32 v17, v7
	v_mov_b32_e32 v16, v6
                                        ; implicit-def: $vgpr15
.LBB27_305:                             ;   in Loop: Header=BB27_283 Depth=1
	s_or_saveexec_b64 s[4:5], s[4:5]
	v_mov_b32_e32 v18, 0
	s_xor_b64 exec, exec, s[4:5]
	s_cbranch_execz .LBB27_307
; %bb.306:                              ;   in Loop: Header=BB27_283 Depth=1
	global_load_dwordx2 v[12:13], v[6:7], off
	v_add_u32_e32 v18, -8, v15
.LBB27_307:                             ;   in Loop: Header=BB27_283 Depth=1
	s_or_b64 exec, exec, s[4:5]
	v_add_co_u32_e64 v6, s[4:5], 8, v16
	v_cmp_gt_u32_e32 vcc, 8, v18
	v_addc_co_u32_e64 v7, s[4:5], 0, v17, s[4:5]
                                        ; implicit-def: $vgpr14_vgpr15
	s_and_saveexec_b64 s[4:5], vcc
	s_xor_b64 s[4:5], exec, s[4:5]
	s_cbranch_execz .LBB27_313
; %bb.308:                              ;   in Loop: Header=BB27_283 Depth=1
	v_mov_b32_e32 v14, 0
	v_mov_b32_e32 v15, 0
	v_cmp_ne_u32_e32 vcc, 0, v18
	s_and_saveexec_b64 s[14:15], vcc
	s_cbranch_execz .LBB27_312
; %bb.309:                              ;   in Loop: Header=BB27_283 Depth=1
	v_mov_b32_e32 v14, 0
	s_mov_b64 s[16:17], 0
	v_mov_b32_e32 v15, 0
	s_mov_b64 s[18:19], 0
	s_mov_b64 s[20:21], 0
.LBB27_310:                             ;   Parent Loop BB27_283 Depth=1
                                        ; =>  This Inner Loop Header: Depth=2
	v_mov_b32_e32 v7, s21
	v_add_co_u32_e32 v6, vcc, s20, v16
	v_addc_co_u32_e32 v7, vcc, v17, v7, vcc
	global_load_ubyte v6, v[6:7], off
	s_add_u32 s20, s20, 1
	v_mov_b32_e32 v7, s22
	s_addc_u32 s21, s21, 0
	v_cmp_eq_u32_e32 vcc, s20, v18
	s_waitcnt vmcnt(0)
	v_and_b32_e32 v6, 0xffff, v6
	v_lshlrev_b64 v[6:7], s18, v[6:7]
	s_add_u32 s18, s18, 8
	s_addc_u32 s19, s19, 0
	v_or_b32_e32 v15, v7, v15
	s_or_b64 s[16:17], vcc, s[16:17]
	v_or_b32_e32 v14, v6, v14
	s_andn2_b64 exec, exec, s[16:17]
	s_cbranch_execnz .LBB27_310
; %bb.311:                              ;   in Loop: Header=BB27_283 Depth=1
	s_or_b64 exec, exec, s[16:17]
.LBB27_312:                             ;   in Loop: Header=BB27_283 Depth=1
	s_or_b64 exec, exec, s[14:15]
	v_mov_b32_e32 v6, v16
	v_mov_b32_e32 v7, v17
                                        ; implicit-def: $vgpr18
.LBB27_313:                             ;   in Loop: Header=BB27_283 Depth=1
	s_or_saveexec_b64 s[4:5], s[4:5]
	v_mov_b32_e32 v19, 0
	s_xor_b64 exec, exec, s[4:5]
	s_cbranch_execz .LBB27_315
; %bb.314:                              ;   in Loop: Header=BB27_283 Depth=1
	global_load_dwordx2 v[14:15], v[16:17], off
	v_add_u32_e32 v19, -8, v18
.LBB27_315:                             ;   in Loop: Header=BB27_283 Depth=1
	s_or_b64 exec, exec, s[4:5]
	v_add_co_u32_e64 v20, s[4:5], 8, v6
	v_cmp_gt_u32_e32 vcc, 8, v19
	v_addc_co_u32_e64 v21, s[4:5], 0, v7, s[4:5]
	s_and_saveexec_b64 s[4:5], vcc
	s_xor_b64 s[4:5], exec, s[4:5]
	s_cbranch_execz .LBB27_321
; %bb.316:                              ;   in Loop: Header=BB27_283 Depth=1
	v_mov_b32_e32 v16, 0
	v_mov_b32_e32 v17, 0
	v_cmp_ne_u32_e32 vcc, 0, v19
	s_and_saveexec_b64 s[14:15], vcc
	s_cbranch_execz .LBB27_320
; %bb.317:                              ;   in Loop: Header=BB27_283 Depth=1
	v_mov_b32_e32 v16, 0
	s_mov_b64 s[16:17], 0
	v_mov_b32_e32 v17, 0
	s_mov_b64 s[18:19], 0
	s_mov_b64 s[20:21], 0
.LBB27_318:                             ;   Parent Loop BB27_283 Depth=1
                                        ; =>  This Inner Loop Header: Depth=2
	v_mov_b32_e32 v18, s21
	v_add_co_u32_e32 v20, vcc, s20, v6
	v_addc_co_u32_e32 v21, vcc, v7, v18, vcc
	global_load_ubyte v18, v[20:21], off
	s_add_u32 s20, s20, 1
	v_mov_b32_e32 v21, s22
	s_addc_u32 s21, s21, 0
	v_cmp_eq_u32_e32 vcc, s20, v19
	s_waitcnt vmcnt(0)
	v_and_b32_e32 v20, 0xffff, v18
	v_lshlrev_b64 v[20:21], s18, v[20:21]
	s_add_u32 s18, s18, 8
	s_addc_u32 s19, s19, 0
	v_or_b32_e32 v17, v21, v17
	s_or_b64 s[16:17], vcc, s[16:17]
	v_or_b32_e32 v16, v20, v16
	s_andn2_b64 exec, exec, s[16:17]
	s_cbranch_execnz .LBB27_318
; %bb.319:                              ;   in Loop: Header=BB27_283 Depth=1
	s_or_b64 exec, exec, s[16:17]
.LBB27_320:                             ;   in Loop: Header=BB27_283 Depth=1
	s_or_b64 exec, exec, s[14:15]
	v_mov_b32_e32 v21, v7
	v_mov_b32_e32 v20, v6
                                        ; implicit-def: $vgpr19
.LBB27_321:                             ;   in Loop: Header=BB27_283 Depth=1
	s_or_saveexec_b64 s[4:5], s[4:5]
	v_mov_b32_e32 v22, 0
	s_xor_b64 exec, exec, s[4:5]
	s_cbranch_execz .LBB27_323
; %bb.322:                              ;   in Loop: Header=BB27_283 Depth=1
	global_load_dwordx2 v[16:17], v[6:7], off
	v_add_u32_e32 v22, -8, v19
.LBB27_323:                             ;   in Loop: Header=BB27_283 Depth=1
	s_or_b64 exec, exec, s[4:5]
	v_add_co_u32_e64 v6, s[4:5], 8, v20
	v_cmp_gt_u32_e32 vcc, 8, v22
	v_addc_co_u32_e64 v7, s[4:5], 0, v21, s[4:5]
                                        ; implicit-def: $vgpr18_vgpr19
	s_and_saveexec_b64 s[4:5], vcc
	s_xor_b64 s[4:5], exec, s[4:5]
	s_cbranch_execz .LBB27_329
; %bb.324:                              ;   in Loop: Header=BB27_283 Depth=1
	v_mov_b32_e32 v18, 0
	v_mov_b32_e32 v19, 0
	v_cmp_ne_u32_e32 vcc, 0, v22
	s_and_saveexec_b64 s[14:15], vcc
	s_cbranch_execz .LBB27_328
; %bb.325:                              ;   in Loop: Header=BB27_283 Depth=1
	v_mov_b32_e32 v18, 0
	s_mov_b64 s[16:17], 0
	v_mov_b32_e32 v19, 0
	s_mov_b64 s[18:19], 0
	s_mov_b64 s[20:21], 0
.LBB27_326:                             ;   Parent Loop BB27_283 Depth=1
                                        ; =>  This Inner Loop Header: Depth=2
	v_mov_b32_e32 v7, s21
	v_add_co_u32_e32 v6, vcc, s20, v20
	v_addc_co_u32_e32 v7, vcc, v21, v7, vcc
	global_load_ubyte v6, v[6:7], off
	s_add_u32 s20, s20, 1
	v_mov_b32_e32 v7, s22
	s_addc_u32 s21, s21, 0
	v_cmp_eq_u32_e32 vcc, s20, v22
	s_waitcnt vmcnt(0)
	v_and_b32_e32 v6, 0xffff, v6
	v_lshlrev_b64 v[6:7], s18, v[6:7]
	s_add_u32 s18, s18, 8
	s_addc_u32 s19, s19, 0
	v_or_b32_e32 v19, v7, v19
	s_or_b64 s[16:17], vcc, s[16:17]
	v_or_b32_e32 v18, v6, v18
	s_andn2_b64 exec, exec, s[16:17]
	s_cbranch_execnz .LBB27_326
; %bb.327:                              ;   in Loop: Header=BB27_283 Depth=1
	s_or_b64 exec, exec, s[16:17]
.LBB27_328:                             ;   in Loop: Header=BB27_283 Depth=1
	s_or_b64 exec, exec, s[14:15]
	v_mov_b32_e32 v6, v20
	v_mov_b32_e32 v7, v21
                                        ; implicit-def: $vgpr22
.LBB27_329:                             ;   in Loop: Header=BB27_283 Depth=1
	s_or_saveexec_b64 s[4:5], s[4:5]
	v_mov_b32_e32 v23, 0
	s_xor_b64 exec, exec, s[4:5]
	s_cbranch_execz .LBB27_331
; %bb.330:                              ;   in Loop: Header=BB27_283 Depth=1
	global_load_dwordx2 v[18:19], v[20:21], off
	v_add_u32_e32 v23, -8, v22
.LBB27_331:                             ;   in Loop: Header=BB27_283 Depth=1
	s_or_b64 exec, exec, s[4:5]
	v_cmp_gt_u32_e32 vcc, 8, v23
	s_and_saveexec_b64 s[4:5], vcc
	s_xor_b64 s[4:5], exec, s[4:5]
	s_cbranch_execz .LBB27_337
; %bb.332:                              ;   in Loop: Header=BB27_283 Depth=1
	v_mov_b32_e32 v20, 0
	v_mov_b32_e32 v21, 0
	v_cmp_ne_u32_e32 vcc, 0, v23
	s_and_saveexec_b64 s[14:15], vcc
	s_cbranch_execz .LBB27_336
; %bb.333:                              ;   in Loop: Header=BB27_283 Depth=1
	v_mov_b32_e32 v20, 0
	s_mov_b64 s[16:17], 0
	v_mov_b32_e32 v21, 0
	s_mov_b64 s[18:19], 0
.LBB27_334:                             ;   Parent Loop BB27_283 Depth=1
                                        ; =>  This Inner Loop Header: Depth=2
	global_load_ubyte v22, v[6:7], off
	v_mov_b32_e32 v25, s22
	v_add_co_u32_e32 v6, vcc, 1, v6
	v_add_u32_e32 v23, -1, v23
	v_addc_co_u32_e32 v7, vcc, 0, v7, vcc
	v_cmp_eq_u32_e32 vcc, 0, v23
	s_waitcnt vmcnt(0)
	v_and_b32_e32 v24, 0xffff, v22
	v_lshlrev_b64 v[24:25], s18, v[24:25]
	s_add_u32 s18, s18, 8
	s_addc_u32 s19, s19, 0
	v_or_b32_e32 v21, v25, v21
	s_or_b64 s[16:17], vcc, s[16:17]
	v_or_b32_e32 v20, v24, v20
	s_andn2_b64 exec, exec, s[16:17]
	s_cbranch_execnz .LBB27_334
; %bb.335:                              ;   in Loop: Header=BB27_283 Depth=1
	s_or_b64 exec, exec, s[16:17]
.LBB27_336:                             ;   in Loop: Header=BB27_283 Depth=1
	s_or_b64 exec, exec, s[14:15]
                                        ; implicit-def: $vgpr6_vgpr7
.LBB27_337:                             ;   in Loop: Header=BB27_283 Depth=1
	s_andn2_saveexec_b64 s[4:5], s[4:5]
	s_cbranch_execz .LBB27_339
; %bb.338:                              ;   in Loop: Header=BB27_283 Depth=1
	global_load_dwordx2 v[20:21], v[6:7], off
.LBB27_339:                             ;   in Loop: Header=BB27_283 Depth=1
	s_or_b64 exec, exec, s[4:5]
	v_readfirstlane_b32 s4, v34
	v_mov_b32_e32 v6, 0
	v_mov_b32_e32 v7, 0
	v_cmp_eq_u32_e64 s[4:5], s4, v34
	s_and_saveexec_b64 s[14:15], s[4:5]
	s_cbranch_execz .LBB27_345
; %bb.340:                              ;   in Loop: Header=BB27_283 Depth=1
	global_load_dwordx2 v[24:25], v29, s[10:11] offset:24 glc
	s_waitcnt vmcnt(0)
	buffer_wbinvl1_vol
	global_load_dwordx2 v[6:7], v29, s[10:11] offset:40
	global_load_dwordx2 v[22:23], v29, s[10:11]
	s_waitcnt vmcnt(1)
	v_and_b32_e32 v6, v6, v24
	v_and_b32_e32 v7, v7, v25
	v_mul_lo_u32 v7, v7, 24
	v_mul_hi_u32 v28, v6, 24
	v_mul_lo_u32 v6, v6, 24
	v_add_u32_e32 v7, v28, v7
	s_waitcnt vmcnt(0)
	v_add_co_u32_e32 v6, vcc, v22, v6
	v_addc_co_u32_e32 v7, vcc, v23, v7, vcc
	global_load_dwordx2 v[22:23], v[6:7], off glc
	s_waitcnt vmcnt(0)
	global_atomic_cmpswap_x2 v[6:7], v29, v[22:25], s[10:11] offset:24 glc
	s_waitcnt vmcnt(0)
	buffer_wbinvl1_vol
	v_cmp_ne_u64_e32 vcc, v[6:7], v[24:25]
	s_and_saveexec_b64 s[16:17], vcc
	s_cbranch_execz .LBB27_344
; %bb.341:                              ;   in Loop: Header=BB27_283 Depth=1
	s_mov_b64 s[18:19], 0
.LBB27_342:                             ;   Parent Loop BB27_283 Depth=1
                                        ; =>  This Inner Loop Header: Depth=2
	s_sleep 1
	global_load_dwordx2 v[22:23], v29, s[10:11] offset:40
	global_load_dwordx2 v[32:33], v29, s[10:11]
	v_mov_b32_e32 v25, v7
	v_mov_b32_e32 v24, v6
	s_waitcnt vmcnt(1)
	v_and_b32_e32 v6, v22, v24
	s_waitcnt vmcnt(0)
	v_mad_u64_u32 v[6:7], s[20:21], v6, 24, v[32:33]
	v_and_b32_e32 v22, v23, v25
	v_mad_u64_u32 v[22:23], s[20:21], v22, 24, v[7:8]
	v_mov_b32_e32 v7, v22
	global_load_dwordx2 v[22:23], v[6:7], off glc
	s_waitcnt vmcnt(0)
	global_atomic_cmpswap_x2 v[6:7], v29, v[22:25], s[10:11] offset:24 glc
	s_waitcnt vmcnt(0)
	buffer_wbinvl1_vol
	v_cmp_eq_u64_e32 vcc, v[6:7], v[24:25]
	s_or_b64 s[18:19], vcc, s[18:19]
	s_andn2_b64 exec, exec, s[18:19]
	s_cbranch_execnz .LBB27_342
; %bb.343:                              ;   in Loop: Header=BB27_283 Depth=1
	s_or_b64 exec, exec, s[18:19]
.LBB27_344:                             ;   in Loop: Header=BB27_283 Depth=1
	s_or_b64 exec, exec, s[16:17]
.LBB27_345:                             ;   in Loop: Header=BB27_283 Depth=1
	s_or_b64 exec, exec, s[14:15]
	global_load_dwordx2 v[32:33], v29, s[10:11] offset:40
	global_load_dwordx4 v[22:25], v29, s[10:11]
	v_readfirstlane_b32 s15, v7
	v_readfirstlane_b32 s14, v6
	s_mov_b64 s[16:17], exec
	s_waitcnt vmcnt(1)
	v_readfirstlane_b32 s18, v32
	v_readfirstlane_b32 s19, v33
	s_and_b64 s[18:19], s[18:19], s[14:15]
	s_mul_i32 s20, s19, 24
	s_mul_hi_u32 s21, s18, 24
	s_mul_i32 s24, s18, 24
	s_add_i32 s20, s21, s20
	v_mov_b32_e32 v6, s20
	s_waitcnt vmcnt(0)
	v_add_co_u32_e32 v32, vcc, s24, v22
	v_addc_co_u32_e32 v33, vcc, v23, v6, vcc
	s_and_saveexec_b64 s[20:21], s[4:5]
	s_cbranch_execz .LBB27_347
; %bb.346:                              ;   in Loop: Header=BB27_283 Depth=1
	v_mov_b32_e32 v6, s16
	v_mov_b32_e32 v7, s17
	global_store_dwordx4 v[32:33], v[6:9], off offset:8
.LBB27_347:                             ;   in Loop: Header=BB27_283 Depth=1
	s_or_b64 exec, exec, s[20:21]
	s_lshl_b64 s[16:17], s[18:19], 12
	v_mov_b32_e32 v6, s17
	v_add_co_u32_e32 v24, vcc, s16, v24
	v_addc_co_u32_e32 v25, vcc, v25, v6, vcc
	v_cmp_gt_u64_e32 vcc, 57, v[26:27]
	v_and_b32_e32 v0, 0xffffff1f, v0
	v_cndmask_b32_e32 v6, 0, v36, vcc
	v_lshl_add_u32 v7, v30, 2, 28
	v_or_b32_e32 v0, v0, v6
	v_and_or_b32 v0, v7, s23, v0
	v_readfirstlane_b32 s16, v24
	v_readfirstlane_b32 s17, v25
	s_nop 4
	global_store_dwordx4 v35, v[0:3], s[16:17]
	global_store_dwordx4 v35, v[10:13], s[16:17] offset:16
	global_store_dwordx4 v35, v[14:17], s[16:17] offset:32
	global_store_dwordx4 v35, v[18:21], s[16:17] offset:48
	s_and_saveexec_b64 s[16:17], s[4:5]
	s_cbranch_execz .LBB27_355
; %bb.348:                              ;   in Loop: Header=BB27_283 Depth=1
	global_load_dwordx2 v[12:13], v29, s[10:11] offset:32 glc
	global_load_dwordx2 v[0:1], v29, s[10:11] offset:40
	v_mov_b32_e32 v10, s14
	v_mov_b32_e32 v11, s15
	s_waitcnt vmcnt(0)
	v_readfirstlane_b32 s18, v0
	v_readfirstlane_b32 s19, v1
	s_and_b64 s[18:19], s[18:19], s[14:15]
	s_mul_i32 s19, s19, 24
	s_mul_hi_u32 s20, s18, 24
	s_mul_i32 s18, s18, 24
	s_add_i32 s19, s20, s19
	v_mov_b32_e32 v0, s19
	v_add_co_u32_e32 v6, vcc, s18, v22
	v_addc_co_u32_e32 v7, vcc, v23, v0, vcc
	global_store_dwordx2 v[6:7], v[12:13], off
	s_waitcnt vmcnt(0)
	global_atomic_cmpswap_x2 v[2:3], v29, v[10:13], s[10:11] offset:32 glc
	s_waitcnt vmcnt(0)
	v_cmp_ne_u64_e32 vcc, v[2:3], v[12:13]
	s_and_saveexec_b64 s[18:19], vcc
	s_cbranch_execz .LBB27_351
; %bb.349:                              ;   in Loop: Header=BB27_283 Depth=1
	s_mov_b64 s[20:21], 0
.LBB27_350:                             ;   Parent Loop BB27_283 Depth=1
                                        ; =>  This Inner Loop Header: Depth=2
	s_sleep 1
	global_store_dwordx2 v[6:7], v[2:3], off
	v_mov_b32_e32 v0, s14
	v_mov_b32_e32 v1, s15
	s_waitcnt vmcnt(0)
	global_atomic_cmpswap_x2 v[0:1], v29, v[0:3], s[10:11] offset:32 glc
	s_waitcnt vmcnt(0)
	v_cmp_eq_u64_e32 vcc, v[0:1], v[2:3]
	v_mov_b32_e32 v3, v1
	s_or_b64 s[20:21], vcc, s[20:21]
	v_mov_b32_e32 v2, v0
	s_andn2_b64 exec, exec, s[20:21]
	s_cbranch_execnz .LBB27_350
.LBB27_351:                             ;   in Loop: Header=BB27_283 Depth=1
	s_or_b64 exec, exec, s[18:19]
	global_load_dwordx2 v[0:1], v29, s[10:11] offset:16
	s_mov_b64 s[20:21], exec
	v_mbcnt_lo_u32_b32 v2, s20, 0
	v_mbcnt_hi_u32_b32 v2, s21, v2
	v_cmp_eq_u32_e32 vcc, 0, v2
	s_and_saveexec_b64 s[18:19], vcc
	s_cbranch_execz .LBB27_353
; %bb.352:                              ;   in Loop: Header=BB27_283 Depth=1
	s_bcnt1_i32_b64 s20, s[20:21]
	v_mov_b32_e32 v28, s20
	s_waitcnt vmcnt(0)
	global_atomic_add_x2 v[0:1], v[28:29], off offset:8
.LBB27_353:                             ;   in Loop: Header=BB27_283 Depth=1
	s_or_b64 exec, exec, s[18:19]
	s_waitcnt vmcnt(0)
	global_load_dwordx2 v[2:3], v[0:1], off offset:16
	s_waitcnt vmcnt(0)
	v_cmp_eq_u64_e32 vcc, 0, v[2:3]
	s_cbranch_vccnz .LBB27_355
; %bb.354:                              ;   in Loop: Header=BB27_283 Depth=1
	global_load_dword v28, v[0:1], off offset:24
	s_waitcnt vmcnt(0)
	v_readfirstlane_b32 s18, v28
	s_and_b32 m0, s18, 0xffffff
	global_store_dwordx2 v[2:3], v[28:29], off
	s_sendmsg sendmsg(MSG_INTERRUPT)
.LBB27_355:                             ;   in Loop: Header=BB27_283 Depth=1
	s_or_b64 exec, exec, s[16:17]
	v_add_co_u32_e32 v0, vcc, v24, v35
	v_addc_co_u32_e32 v1, vcc, 0, v25, vcc
	s_branch .LBB27_359
.LBB27_356:                             ;   in Loop: Header=BB27_359 Depth=2
	s_or_b64 exec, exec, s[16:17]
	v_readfirstlane_b32 s16, v2
	s_cmp_eq_u32 s16, 0
	s_cbranch_scc1 .LBB27_358
; %bb.357:                              ;   in Loop: Header=BB27_359 Depth=2
	s_sleep 1
	s_cbranch_execnz .LBB27_359
	s_branch .LBB27_361
.LBB27_358:                             ;   in Loop: Header=BB27_283 Depth=1
	s_branch .LBB27_361
.LBB27_359:                             ;   Parent Loop BB27_283 Depth=1
                                        ; =>  This Inner Loop Header: Depth=2
	v_mov_b32_e32 v2, 1
	s_and_saveexec_b64 s[16:17], s[4:5]
	s_cbranch_execz .LBB27_356
; %bb.360:                              ;   in Loop: Header=BB27_359 Depth=2
	global_load_dword v2, v[32:33], off offset:20 glc
	s_waitcnt vmcnt(0)
	buffer_wbinvl1_vol
	v_and_b32_e32 v2, 1, v2
	s_branch .LBB27_356
.LBB27_361:                             ;   in Loop: Header=BB27_283 Depth=1
	global_load_dwordx2 v[0:1], v[0:1], off
	s_and_saveexec_b64 s[16:17], s[4:5]
	s_cbranch_execz .LBB27_282
; %bb.362:                              ;   in Loop: Header=BB27_283 Depth=1
	global_load_dwordx2 v[2:3], v29, s[10:11] offset:40
	global_load_dwordx2 v[14:15], v29, s[10:11] offset:24 glc
	global_load_dwordx2 v[6:7], v29, s[10:11]
	s_waitcnt vmcnt(2)
	v_readfirstlane_b32 s18, v2
	v_readfirstlane_b32 s19, v3
	s_add_u32 s20, s18, 1
	s_addc_u32 s21, s19, 0
	s_add_u32 s4, s20, s14
	s_addc_u32 s5, s21, s15
	s_cmp_eq_u64 s[4:5], 0
	s_cselect_b32 s5, s21, s5
	s_cselect_b32 s4, s20, s4
	s_and_b64 s[14:15], s[4:5], s[18:19]
	s_mul_i32 s15, s15, 24
	s_mul_hi_u32 s18, s14, 24
	s_mul_i32 s14, s14, 24
	s_add_i32 s15, s18, s15
	v_mov_b32_e32 v3, s15
	s_waitcnt vmcnt(0)
	v_add_co_u32_e32 v2, vcc, s14, v6
	v_addc_co_u32_e32 v3, vcc, v7, v3, vcc
	v_mov_b32_e32 v12, s4
	global_store_dwordx2 v[2:3], v[14:15], off
	v_mov_b32_e32 v13, s5
	s_waitcnt vmcnt(0)
	global_atomic_cmpswap_x2 v[12:13], v29, v[12:15], s[10:11] offset:24 glc
	s_waitcnt vmcnt(0)
	v_cmp_ne_u64_e32 vcc, v[12:13], v[14:15]
	s_and_b64 exec, exec, vcc
	s_cbranch_execz .LBB27_282
; %bb.363:                              ;   in Loop: Header=BB27_283 Depth=1
	s_mov_b64 s[14:15], 0
.LBB27_364:                             ;   Parent Loop BB27_283 Depth=1
                                        ; =>  This Inner Loop Header: Depth=2
	s_sleep 1
	global_store_dwordx2 v[2:3], v[12:13], off
	v_mov_b32_e32 v10, s4
	v_mov_b32_e32 v11, s5
	s_waitcnt vmcnt(0)
	global_atomic_cmpswap_x2 v[6:7], v29, v[10:13], s[10:11] offset:24 glc
	s_waitcnt vmcnt(0)
	v_cmp_eq_u64_e32 vcc, v[6:7], v[12:13]
	v_mov_b32_e32 v13, v7
	s_or_b64 s[14:15], vcc, s[14:15]
	v_mov_b32_e32 v12, v6
	s_andn2_b64 exec, exec, s[14:15]
	s_cbranch_execnz .LBB27_364
	s_branch .LBB27_282
.LBB27_365:
	s_or_b64 exec, exec, s[12:13]
                                        ; implicit-def: $vgpr35
                                        ; implicit-def: $vgpr34
.LBB27_366:
	s_andn2_saveexec_b64 s[6:7], s[6:7]
	s_cbranch_execz .LBB27_393
; %bb.367:
	v_readfirstlane_b32 s4, v34
	v_mov_b32_e32 v8, 0
	v_mov_b32_e32 v9, 0
	v_cmp_eq_u32_e64 s[4:5], s4, v34
	s_and_saveexec_b64 s[12:13], s[4:5]
	s_cbranch_execz .LBB27_373
; %bb.368:
	v_mov_b32_e32 v2, 0
	global_load_dwordx2 v[5:6], v2, s[10:11] offset:24 glc
	s_waitcnt vmcnt(0)
	buffer_wbinvl1_vol
	global_load_dwordx2 v[3:4], v2, s[10:11] offset:40
	global_load_dwordx2 v[7:8], v2, s[10:11]
	s_waitcnt vmcnt(1)
	v_and_b32_e32 v3, v3, v5
	v_and_b32_e32 v4, v4, v6
	v_mul_lo_u32 v4, v4, 24
	v_mul_hi_u32 v9, v3, 24
	v_mul_lo_u32 v3, v3, 24
	v_add_u32_e32 v4, v9, v4
	s_waitcnt vmcnt(0)
	v_add_co_u32_e32 v3, vcc, v7, v3
	v_addc_co_u32_e32 v4, vcc, v8, v4, vcc
	global_load_dwordx2 v[3:4], v[3:4], off glc
	s_waitcnt vmcnt(0)
	global_atomic_cmpswap_x2 v[8:9], v2, v[3:6], s[10:11] offset:24 glc
	s_waitcnt vmcnt(0)
	buffer_wbinvl1_vol
	v_cmp_ne_u64_e32 vcc, v[8:9], v[5:6]
	s_and_saveexec_b64 s[14:15], vcc
	s_cbranch_execz .LBB27_372
; %bb.369:
	s_mov_b64 s[16:17], 0
.LBB27_370:                             ; =>This Inner Loop Header: Depth=1
	s_sleep 1
	global_load_dwordx2 v[3:4], v2, s[10:11] offset:40
	global_load_dwordx2 v[10:11], v2, s[10:11]
	v_mov_b32_e32 v5, v8
	v_mov_b32_e32 v6, v9
	s_waitcnt vmcnt(1)
	v_and_b32_e32 v3, v3, v5
	s_waitcnt vmcnt(0)
	v_mad_u64_u32 v[7:8], s[18:19], v3, 24, v[10:11]
	v_and_b32_e32 v4, v4, v6
	v_mov_b32_e32 v3, v8
	v_mad_u64_u32 v[3:4], s[18:19], v4, 24, v[3:4]
	v_mov_b32_e32 v8, v3
	global_load_dwordx2 v[3:4], v[7:8], off glc
	s_waitcnt vmcnt(0)
	global_atomic_cmpswap_x2 v[8:9], v2, v[3:6], s[10:11] offset:24 glc
	s_waitcnt vmcnt(0)
	buffer_wbinvl1_vol
	v_cmp_eq_u64_e32 vcc, v[8:9], v[5:6]
	s_or_b64 s[16:17], vcc, s[16:17]
	s_andn2_b64 exec, exec, s[16:17]
	s_cbranch_execnz .LBB27_370
; %bb.371:
	s_or_b64 exec, exec, s[16:17]
.LBB27_372:
	s_or_b64 exec, exec, s[14:15]
.LBB27_373:
	s_or_b64 exec, exec, s[12:13]
	v_mov_b32_e32 v2, 0
	global_load_dwordx2 v[10:11], v2, s[10:11] offset:40
	global_load_dwordx4 v[4:7], v2, s[10:11]
	v_readfirstlane_b32 s13, v9
	v_readfirstlane_b32 s12, v8
	s_mov_b64 s[14:15], exec
	s_waitcnt vmcnt(1)
	v_readfirstlane_b32 s16, v10
	v_readfirstlane_b32 s17, v11
	s_and_b64 s[16:17], s[16:17], s[12:13]
	s_mul_i32 s18, s17, 24
	s_mul_hi_u32 s19, s16, 24
	s_mul_i32 s20, s16, 24
	s_add_i32 s18, s19, s18
	v_mov_b32_e32 v3, s18
	s_waitcnt vmcnt(0)
	v_add_co_u32_e32 v8, vcc, s20, v4
	v_addc_co_u32_e32 v9, vcc, v5, v3, vcc
	s_and_saveexec_b64 s[18:19], s[4:5]
	s_cbranch_execz .LBB27_375
; %bb.374:
	v_mov_b32_e32 v10, s14
	v_mov_b32_e32 v11, s15
	;; [unrolled: 1-line block ×4, first 2 shown]
	global_store_dwordx4 v[8:9], v[10:13], off offset:8
.LBB27_375:
	s_or_b64 exec, exec, s[18:19]
	s_lshl_b64 s[14:15], s[16:17], 12
	v_mov_b32_e32 v3, s15
	v_add_co_u32_e32 v10, vcc, s14, v6
	v_addc_co_u32_e32 v11, vcc, v7, v3, vcc
	s_movk_i32 s14, 0xff1f
	v_and_or_b32 v0, v0, s14, 32
	s_mov_b32 s16, 0
	v_mov_b32_e32 v3, v2
	v_readfirstlane_b32 s14, v10
	v_readfirstlane_b32 s15, v11
	v_add_co_u32_e32 v6, vcc, v10, v35
	s_mov_b32 s17, s16
	s_mov_b32 s18, s16
	;; [unrolled: 1-line block ×3, first 2 shown]
	s_nop 0
	global_store_dwordx4 v35, v[0:3], s[14:15]
	v_addc_co_u32_e32 v7, vcc, 0, v11, vcc
	v_mov_b32_e32 v0, s16
	v_mov_b32_e32 v1, s17
	;; [unrolled: 1-line block ×4, first 2 shown]
	global_store_dwordx4 v35, v[0:3], s[14:15] offset:16
	global_store_dwordx4 v35, v[0:3], s[14:15] offset:32
	global_store_dwordx4 v35, v[0:3], s[14:15] offset:48
	s_and_saveexec_b64 s[14:15], s[4:5]
	s_cbranch_execz .LBB27_383
; %bb.376:
	v_mov_b32_e32 v10, 0
	global_load_dwordx2 v[13:14], v10, s[10:11] offset:32 glc
	global_load_dwordx2 v[0:1], v10, s[10:11] offset:40
	v_mov_b32_e32 v11, s12
	v_mov_b32_e32 v12, s13
	s_waitcnt vmcnt(0)
	v_readfirstlane_b32 s16, v0
	v_readfirstlane_b32 s17, v1
	s_and_b64 s[16:17], s[16:17], s[12:13]
	s_mul_i32 s17, s17, 24
	s_mul_hi_u32 s18, s16, 24
	s_mul_i32 s16, s16, 24
	s_add_i32 s17, s18, s17
	v_mov_b32_e32 v0, s17
	v_add_co_u32_e32 v4, vcc, s16, v4
	v_addc_co_u32_e32 v5, vcc, v5, v0, vcc
	global_store_dwordx2 v[4:5], v[13:14], off
	s_waitcnt vmcnt(0)
	global_atomic_cmpswap_x2 v[2:3], v10, v[11:14], s[10:11] offset:32 glc
	s_waitcnt vmcnt(0)
	v_cmp_ne_u64_e32 vcc, v[2:3], v[13:14]
	s_and_saveexec_b64 s[16:17], vcc
	s_cbranch_execz .LBB27_379
; %bb.377:
	s_mov_b64 s[18:19], 0
.LBB27_378:                             ; =>This Inner Loop Header: Depth=1
	s_sleep 1
	global_store_dwordx2 v[4:5], v[2:3], off
	v_mov_b32_e32 v0, s12
	v_mov_b32_e32 v1, s13
	s_waitcnt vmcnt(0)
	global_atomic_cmpswap_x2 v[0:1], v10, v[0:3], s[10:11] offset:32 glc
	s_waitcnt vmcnt(0)
	v_cmp_eq_u64_e32 vcc, v[0:1], v[2:3]
	v_mov_b32_e32 v3, v1
	s_or_b64 s[18:19], vcc, s[18:19]
	v_mov_b32_e32 v2, v0
	s_andn2_b64 exec, exec, s[18:19]
	s_cbranch_execnz .LBB27_378
.LBB27_379:
	s_or_b64 exec, exec, s[16:17]
	v_mov_b32_e32 v3, 0
	global_load_dwordx2 v[0:1], v3, s[10:11] offset:16
	s_mov_b64 s[16:17], exec
	v_mbcnt_lo_u32_b32 v2, s16, 0
	v_mbcnt_hi_u32_b32 v2, s17, v2
	v_cmp_eq_u32_e32 vcc, 0, v2
	s_and_saveexec_b64 s[18:19], vcc
	s_cbranch_execz .LBB27_381
; %bb.380:
	s_bcnt1_i32_b64 s16, s[16:17]
	v_mov_b32_e32 v2, s16
	s_waitcnt vmcnt(0)
	global_atomic_add_x2 v[0:1], v[2:3], off offset:8
.LBB27_381:
	s_or_b64 exec, exec, s[18:19]
	s_waitcnt vmcnt(0)
	global_load_dwordx2 v[2:3], v[0:1], off offset:16
	s_waitcnt vmcnt(0)
	v_cmp_eq_u64_e32 vcc, 0, v[2:3]
	s_cbranch_vccnz .LBB27_383
; %bb.382:
	global_load_dword v0, v[0:1], off offset:24
	v_mov_b32_e32 v1, 0
	s_waitcnt vmcnt(0)
	v_readfirstlane_b32 s16, v0
	s_and_b32 m0, s16, 0xffffff
	global_store_dwordx2 v[2:3], v[0:1], off
	s_sendmsg sendmsg(MSG_INTERRUPT)
.LBB27_383:
	s_or_b64 exec, exec, s[14:15]
	s_branch .LBB27_387
.LBB27_384:                             ;   in Loop: Header=BB27_387 Depth=1
	s_or_b64 exec, exec, s[14:15]
	v_readfirstlane_b32 s14, v0
	s_cmp_eq_u32 s14, 0
	s_cbranch_scc1 .LBB27_386
; %bb.385:                              ;   in Loop: Header=BB27_387 Depth=1
	s_sleep 1
	s_cbranch_execnz .LBB27_387
	s_branch .LBB27_389
.LBB27_386:
	s_branch .LBB27_389
.LBB27_387:                             ; =>This Inner Loop Header: Depth=1
	v_mov_b32_e32 v0, 1
	s_and_saveexec_b64 s[14:15], s[4:5]
	s_cbranch_execz .LBB27_384
; %bb.388:                              ;   in Loop: Header=BB27_387 Depth=1
	global_load_dword v0, v[8:9], off offset:20 glc
	s_waitcnt vmcnt(0)
	buffer_wbinvl1_vol
	v_and_b32_e32 v0, 1, v0
	s_branch .LBB27_384
.LBB27_389:
	global_load_dwordx2 v[0:1], v[6:7], off
	s_and_saveexec_b64 s[14:15], s[4:5]
	s_cbranch_execz .LBB27_392
; %bb.390:
	v_mov_b32_e32 v8, 0
	global_load_dwordx2 v[2:3], v8, s[10:11] offset:40
	global_load_dwordx2 v[11:12], v8, s[10:11] offset:24 glc
	global_load_dwordx2 v[4:5], v8, s[10:11]
	s_waitcnt vmcnt(2)
	v_readfirstlane_b32 s16, v2
	v_readfirstlane_b32 s17, v3
	s_add_u32 s18, s16, 1
	s_addc_u32 s19, s17, 0
	s_add_u32 s4, s18, s12
	s_addc_u32 s5, s19, s13
	s_cmp_eq_u64 s[4:5], 0
	s_cselect_b32 s5, s19, s5
	s_cselect_b32 s4, s18, s4
	s_and_b64 s[12:13], s[4:5], s[16:17]
	s_mul_i32 s13, s13, 24
	s_mul_hi_u32 s16, s12, 24
	s_mul_i32 s12, s12, 24
	s_add_i32 s13, s16, s13
	v_mov_b32_e32 v2, s13
	s_waitcnt vmcnt(0)
	v_add_co_u32_e32 v6, vcc, s12, v4
	v_addc_co_u32_e32 v7, vcc, v5, v2, vcc
	v_mov_b32_e32 v9, s4
	global_store_dwordx2 v[6:7], v[11:12], off
	v_mov_b32_e32 v10, s5
	s_waitcnt vmcnt(0)
	global_atomic_cmpswap_x2 v[4:5], v8, v[9:12], s[10:11] offset:24 glc
	s_mov_b64 s[12:13], 0
	s_waitcnt vmcnt(0)
	v_cmp_ne_u64_e32 vcc, v[4:5], v[11:12]
	s_and_b64 exec, exec, vcc
	s_cbranch_execz .LBB27_392
.LBB27_391:                             ; =>This Inner Loop Header: Depth=1
	s_sleep 1
	global_store_dwordx2 v[6:7], v[4:5], off
	v_mov_b32_e32 v2, s4
	v_mov_b32_e32 v3, s5
	s_waitcnt vmcnt(0)
	global_atomic_cmpswap_x2 v[2:3], v8, v[2:5], s[10:11] offset:24 glc
	s_waitcnt vmcnt(0)
	v_cmp_eq_u64_e32 vcc, v[2:3], v[4:5]
	v_mov_b32_e32 v5, v3
	s_or_b64 s[12:13], vcc, s[12:13]
	v_mov_b32_e32 v4, v2
	s_andn2_b64 exec, exec, s[12:13]
	s_cbranch_execnz .LBB27_391
.LBB27_392:
	s_or_b64 exec, exec, s[14:15]
.LBB27_393:
	s_or_b64 exec, exec, s[6:7]
	s_getpc_b64 s[4:5]
	s_add_u32 s4, s4, .str@rel32@lo+4
	s_addc_u32 s5, s5, .str@rel32@hi+12
	s_getpc_b64 s[6:7]
	s_add_u32 s6, s6, .str@rel32@lo+10
	s_addc_u32 s7, s7, .str@rel32@hi+18
	s_sub_i32 s10, s6, s4
	s_ashr_i32 s11, s10, 31
	s_getpc_b64 s[6:7]
	s_add_u32 s6, s6, __ockl_fprintf_append_string_n@rel32@lo+4
	s_addc_u32 s7, s7, __ockl_fprintf_append_string_n@rel32@hi+12
	v_mov_b32_e32 v2, s4
	v_mov_b32_e32 v3, s5
	;; [unrolled: 1-line block ×5, first 2 shown]
	s_swappc_b64 s[30:31], s[6:7]
	s_trap 2
.Lfunc_end27:
	.size	__assert_fail, .Lfunc_end27-__assert_fail
                                        ; -- End function
	.set .L__assert_fail.num_vgpr, max(41, .L__ockl_fprintf_append_string_n.num_vgpr)
	.set .L__assert_fail.num_agpr, max(0, .L__ockl_fprintf_append_string_n.num_agpr)
	.set .L__assert_fail.numbered_sgpr, max(34, .L__ockl_fprintf_append_string_n.numbered_sgpr)
	.set .L__assert_fail.num_named_barrier, max(0, .L__ockl_fprintf_append_string_n.num_named_barrier)
	.set .L__assert_fail.private_seg_size, 64+max(.L__ockl_fprintf_append_string_n.private_seg_size)
	.set .L__assert_fail.uses_vcc, or(1, .L__ockl_fprintf_append_string_n.uses_vcc)
	.set .L__assert_fail.uses_flat_scratch, or(0, .L__ockl_fprintf_append_string_n.uses_flat_scratch)
	.set .L__assert_fail.has_dyn_sized_stack, or(0, .L__ockl_fprintf_append_string_n.has_dyn_sized_stack)
	.set .L__assert_fail.has_recursion, or(0, .L__ockl_fprintf_append_string_n.has_recursion)
	.set .L__assert_fail.has_indirect_call, or(0, .L__ockl_fprintf_append_string_n.has_indirect_call)
	.section	.AMDGPU.csdata,"",@progbits
; Function info:
; codeLenInByte = 13844
; TotalNumSgprs: 38
; NumVgprs: 41
; ScratchSize: 64
; MemoryBound: 0
	.section	.text._ZN4vllm18convert_fp8_kernelIhfLNS_18Fp8KVCacheDataTypeE0EEEvPKT0_PT_fl,"axG",@progbits,_ZN4vllm18convert_fp8_kernelIhfLNS_18Fp8KVCacheDataTypeE0EEEvPKT0_PT_fl,comdat
	.protected	_ZN4vllm18convert_fp8_kernelIhfLNS_18Fp8KVCacheDataTypeE0EEEvPKT0_PT_fl ; -- Begin function _ZN4vllm18convert_fp8_kernelIhfLNS_18Fp8KVCacheDataTypeE0EEEvPKT0_PT_fl
	.globl	_ZN4vllm18convert_fp8_kernelIhfLNS_18Fp8KVCacheDataTypeE0EEEvPKT0_PT_fl
	.p2align	8
	.type	_ZN4vllm18convert_fp8_kernelIhfLNS_18Fp8KVCacheDataTypeE0EEEvPKT0_PT_fl,@function
_ZN4vllm18convert_fp8_kernelIhfLNS_18Fp8KVCacheDataTypeE0EEEvPKT0_PT_fl: ; @_ZN4vllm18convert_fp8_kernelIhfLNS_18Fp8KVCacheDataTypeE0EEEvPKT0_PT_fl
; %bb.0:
	s_add_u32 flat_scratch_lo, s6, s9
	s_addc_u32 flat_scratch_hi, s7, 0
	s_load_dwordx2 s[6:7], s[4:5], 0x18
	v_mov_b32_e32 v1, 0
	s_add_u32 s0, s0, s9
	s_addc_u32 s1, s1, 0
	s_mov_b32 s32, 0
	s_waitcnt lgkmcnt(0)
	v_cmp_gt_i64_e32 vcc, s[6:7], v[0:1]
	s_and_saveexec_b64 s[6:7], vcc
	s_cbranch_execz .LBB28_2
; %bb.1:
	s_add_u32 s8, s4, 32
	s_addc_u32 s9, s5, 0
	s_getpc_b64 s[4:5]
	s_add_u32 s4, s4, __PRETTY_FUNCTION__._ZN4vllm3fp814scaled_convertIhfLNS_18Fp8KVCacheDataTypeE0EEET_RKT0_f@rel32@lo+4
	s_addc_u32 s5, s5, __PRETTY_FUNCTION__._ZN4vllm3fp814scaled_convertIhfLNS_18Fp8KVCacheDataTypeE0EEET_RKT0_f@rel32@hi+12
	s_getpc_b64 s[6:7]
	s_add_u32 s6, s6, __assert_fail@rel32@lo+4
	s_addc_u32 s7, s7, __assert_fail@rel32@hi+12
	v_mov_b32_e32 v0, s4
	v_mov_b32_e32 v1, s5
	s_swappc_b64 s[30:31], s[6:7]
	; divergent unreachable
.LBB28_2:
	s_endpgm
	.section	.rodata,"a",@progbits
	.p2align	6, 0x0
	.amdhsa_kernel _ZN4vllm18convert_fp8_kernelIhfLNS_18Fp8KVCacheDataTypeE0EEEvPKT0_PT_fl
		.amdhsa_group_segment_fixed_size 0
		.amdhsa_private_segment_fixed_size 64
		.amdhsa_kernarg_size 288
		.amdhsa_user_sgpr_count 8
		.amdhsa_user_sgpr_private_segment_buffer 1
		.amdhsa_user_sgpr_dispatch_ptr 0
		.amdhsa_user_sgpr_queue_ptr 0
		.amdhsa_user_sgpr_kernarg_segment_ptr 1
		.amdhsa_user_sgpr_dispatch_id 0
		.amdhsa_user_sgpr_flat_scratch_init 1
		.amdhsa_user_sgpr_private_segment_size 0
		.amdhsa_uses_dynamic_stack 0
		.amdhsa_system_sgpr_private_segment_wavefront_offset 1
		.amdhsa_system_sgpr_workgroup_id_x 1
		.amdhsa_system_sgpr_workgroup_id_y 0
		.amdhsa_system_sgpr_workgroup_id_z 0
		.amdhsa_system_sgpr_workgroup_info 0
		.amdhsa_system_vgpr_workitem_id 0
		.amdhsa_next_free_vgpr 41
		.amdhsa_next_free_sgpr 34
		.amdhsa_reserve_vcc 1
		.amdhsa_reserve_flat_scratch 1
		.amdhsa_float_round_mode_32 0
		.amdhsa_float_round_mode_16_64 0
		.amdhsa_float_denorm_mode_32 3
		.amdhsa_float_denorm_mode_16_64 3
		.amdhsa_dx10_clamp 1
		.amdhsa_ieee_mode 1
		.amdhsa_fp16_overflow 0
		.amdhsa_exception_fp_ieee_invalid_op 0
		.amdhsa_exception_fp_denorm_src 0
		.amdhsa_exception_fp_ieee_div_zero 0
		.amdhsa_exception_fp_ieee_overflow 0
		.amdhsa_exception_fp_ieee_underflow 0
		.amdhsa_exception_fp_ieee_inexact 0
		.amdhsa_exception_int_div_zero 0
	.end_amdhsa_kernel
	.section	.text._ZN4vllm18convert_fp8_kernelIhfLNS_18Fp8KVCacheDataTypeE0EEEvPKT0_PT_fl,"axG",@progbits,_ZN4vllm18convert_fp8_kernelIhfLNS_18Fp8KVCacheDataTypeE0EEEvPKT0_PT_fl,comdat
.Lfunc_end28:
	.size	_ZN4vllm18convert_fp8_kernelIhfLNS_18Fp8KVCacheDataTypeE0EEEvPKT0_PT_fl, .Lfunc_end28-_ZN4vllm18convert_fp8_kernelIhfLNS_18Fp8KVCacheDataTypeE0EEEvPKT0_PT_fl
                                        ; -- End function
	.set _ZN4vllm18convert_fp8_kernelIhfLNS_18Fp8KVCacheDataTypeE0EEEvPKT0_PT_fl.num_vgpr, max(2, .L__assert_fail.num_vgpr)
	.set _ZN4vllm18convert_fp8_kernelIhfLNS_18Fp8KVCacheDataTypeE0EEEvPKT0_PT_fl.num_agpr, max(0, .L__assert_fail.num_agpr)
	.set _ZN4vllm18convert_fp8_kernelIhfLNS_18Fp8KVCacheDataTypeE0EEEvPKT0_PT_fl.numbered_sgpr, max(33, .L__assert_fail.numbered_sgpr)
	.set _ZN4vllm18convert_fp8_kernelIhfLNS_18Fp8KVCacheDataTypeE0EEEvPKT0_PT_fl.num_named_barrier, max(0, .L__assert_fail.num_named_barrier)
	.set _ZN4vllm18convert_fp8_kernelIhfLNS_18Fp8KVCacheDataTypeE0EEEvPKT0_PT_fl.private_seg_size, 0+max(.L__assert_fail.private_seg_size)
	.set _ZN4vllm18convert_fp8_kernelIhfLNS_18Fp8KVCacheDataTypeE0EEEvPKT0_PT_fl.uses_vcc, or(1, .L__assert_fail.uses_vcc)
	.set _ZN4vllm18convert_fp8_kernelIhfLNS_18Fp8KVCacheDataTypeE0EEEvPKT0_PT_fl.uses_flat_scratch, or(1, .L__assert_fail.uses_flat_scratch)
	.set _ZN4vllm18convert_fp8_kernelIhfLNS_18Fp8KVCacheDataTypeE0EEEvPKT0_PT_fl.has_dyn_sized_stack, or(0, .L__assert_fail.has_dyn_sized_stack)
	.set _ZN4vllm18convert_fp8_kernelIhfLNS_18Fp8KVCacheDataTypeE0EEEvPKT0_PT_fl.has_recursion, or(0, .L__assert_fail.has_recursion)
	.set _ZN4vllm18convert_fp8_kernelIhfLNS_18Fp8KVCacheDataTypeE0EEEvPKT0_PT_fl.has_indirect_call, or(0, .L__assert_fail.has_indirect_call)
	.section	.AMDGPU.csdata,"",@progbits
; Kernel info:
; codeLenInByte = 112
; TotalNumSgprs: 40
; NumVgprs: 41
; ScratchSize: 64
; MemoryBound: 0
; FloatMode: 240
; IeeeMode: 1
; LDSByteSize: 0 bytes/workgroup (compile time only)
; SGPRBlocks: 4
; VGPRBlocks: 10
; NumSGPRsForWavesPerEU: 40
; NumVGPRsForWavesPerEU: 41
; Occupancy: 5
; WaveLimiterHint : 1
; COMPUTE_PGM_RSRC2:SCRATCH_EN: 1
; COMPUTE_PGM_RSRC2:USER_SGPR: 8
; COMPUTE_PGM_RSRC2:TRAP_HANDLER: 0
; COMPUTE_PGM_RSRC2:TGID_X_EN: 1
; COMPUTE_PGM_RSRC2:TGID_Y_EN: 0
; COMPUTE_PGM_RSRC2:TGID_Z_EN: 0
; COMPUTE_PGM_RSRC2:TIDIG_COMP_CNT: 0
	.section	.text._ZN4vllm18convert_fp8_kernelIhtLNS_18Fp8KVCacheDataTypeE0EEEvPKT0_PT_fl,"axG",@progbits,_ZN4vllm18convert_fp8_kernelIhtLNS_18Fp8KVCacheDataTypeE0EEEvPKT0_PT_fl,comdat
	.protected	_ZN4vllm18convert_fp8_kernelIhtLNS_18Fp8KVCacheDataTypeE0EEEvPKT0_PT_fl ; -- Begin function _ZN4vllm18convert_fp8_kernelIhtLNS_18Fp8KVCacheDataTypeE0EEEvPKT0_PT_fl
	.globl	_ZN4vllm18convert_fp8_kernelIhtLNS_18Fp8KVCacheDataTypeE0EEEvPKT0_PT_fl
	.p2align	8
	.type	_ZN4vllm18convert_fp8_kernelIhtLNS_18Fp8KVCacheDataTypeE0EEEvPKT0_PT_fl,@function
_ZN4vllm18convert_fp8_kernelIhtLNS_18Fp8KVCacheDataTypeE0EEEvPKT0_PT_fl: ; @_ZN4vllm18convert_fp8_kernelIhtLNS_18Fp8KVCacheDataTypeE0EEEvPKT0_PT_fl
; %bb.0:
	s_add_u32 flat_scratch_lo, s6, s9
	s_addc_u32 flat_scratch_hi, s7, 0
	s_load_dwordx2 s[6:7], s[4:5], 0x18
	v_mov_b32_e32 v1, 0
	s_add_u32 s0, s0, s9
	s_addc_u32 s1, s1, 0
	s_mov_b32 s32, 0
	s_waitcnt lgkmcnt(0)
	v_cmp_gt_i64_e32 vcc, s[6:7], v[0:1]
	s_and_saveexec_b64 s[6:7], vcc
	s_cbranch_execz .LBB29_2
; %bb.1:
	s_add_u32 s8, s4, 32
	s_addc_u32 s9, s5, 0
	s_getpc_b64 s[4:5]
	s_add_u32 s4, s4, __PRETTY_FUNCTION__._ZN4vllm3fp814scaled_convertIhtLNS_18Fp8KVCacheDataTypeE0EEET_RKT0_f@rel32@lo+4
	s_addc_u32 s5, s5, __PRETTY_FUNCTION__._ZN4vllm3fp814scaled_convertIhtLNS_18Fp8KVCacheDataTypeE0EEET_RKT0_f@rel32@hi+12
	s_getpc_b64 s[6:7]
	s_add_u32 s6, s6, __assert_fail@rel32@lo+4
	s_addc_u32 s7, s7, __assert_fail@rel32@hi+12
	v_mov_b32_e32 v0, s4
	v_mov_b32_e32 v1, s5
	s_swappc_b64 s[30:31], s[6:7]
	; divergent unreachable
.LBB29_2:
	s_endpgm
	.section	.rodata,"a",@progbits
	.p2align	6, 0x0
	.amdhsa_kernel _ZN4vllm18convert_fp8_kernelIhtLNS_18Fp8KVCacheDataTypeE0EEEvPKT0_PT_fl
		.amdhsa_group_segment_fixed_size 0
		.amdhsa_private_segment_fixed_size 64
		.amdhsa_kernarg_size 288
		.amdhsa_user_sgpr_count 8
		.amdhsa_user_sgpr_private_segment_buffer 1
		.amdhsa_user_sgpr_dispatch_ptr 0
		.amdhsa_user_sgpr_queue_ptr 0
		.amdhsa_user_sgpr_kernarg_segment_ptr 1
		.amdhsa_user_sgpr_dispatch_id 0
		.amdhsa_user_sgpr_flat_scratch_init 1
		.amdhsa_user_sgpr_private_segment_size 0
		.amdhsa_uses_dynamic_stack 0
		.amdhsa_system_sgpr_private_segment_wavefront_offset 1
		.amdhsa_system_sgpr_workgroup_id_x 1
		.amdhsa_system_sgpr_workgroup_id_y 0
		.amdhsa_system_sgpr_workgroup_id_z 0
		.amdhsa_system_sgpr_workgroup_info 0
		.amdhsa_system_vgpr_workitem_id 0
		.amdhsa_next_free_vgpr 41
		.amdhsa_next_free_sgpr 34
		.amdhsa_reserve_vcc 1
		.amdhsa_reserve_flat_scratch 1
		.amdhsa_float_round_mode_32 0
		.amdhsa_float_round_mode_16_64 0
		.amdhsa_float_denorm_mode_32 3
		.amdhsa_float_denorm_mode_16_64 3
		.amdhsa_dx10_clamp 1
		.amdhsa_ieee_mode 1
		.amdhsa_fp16_overflow 0
		.amdhsa_exception_fp_ieee_invalid_op 0
		.amdhsa_exception_fp_denorm_src 0
		.amdhsa_exception_fp_ieee_div_zero 0
		.amdhsa_exception_fp_ieee_overflow 0
		.amdhsa_exception_fp_ieee_underflow 0
		.amdhsa_exception_fp_ieee_inexact 0
		.amdhsa_exception_int_div_zero 0
	.end_amdhsa_kernel
	.section	.text._ZN4vllm18convert_fp8_kernelIhtLNS_18Fp8KVCacheDataTypeE0EEEvPKT0_PT_fl,"axG",@progbits,_ZN4vllm18convert_fp8_kernelIhtLNS_18Fp8KVCacheDataTypeE0EEEvPKT0_PT_fl,comdat
.Lfunc_end29:
	.size	_ZN4vllm18convert_fp8_kernelIhtLNS_18Fp8KVCacheDataTypeE0EEEvPKT0_PT_fl, .Lfunc_end29-_ZN4vllm18convert_fp8_kernelIhtLNS_18Fp8KVCacheDataTypeE0EEEvPKT0_PT_fl
                                        ; -- End function
	.set _ZN4vllm18convert_fp8_kernelIhtLNS_18Fp8KVCacheDataTypeE0EEEvPKT0_PT_fl.num_vgpr, max(2, .L__assert_fail.num_vgpr)
	.set _ZN4vllm18convert_fp8_kernelIhtLNS_18Fp8KVCacheDataTypeE0EEEvPKT0_PT_fl.num_agpr, max(0, .L__assert_fail.num_agpr)
	.set _ZN4vllm18convert_fp8_kernelIhtLNS_18Fp8KVCacheDataTypeE0EEEvPKT0_PT_fl.numbered_sgpr, max(33, .L__assert_fail.numbered_sgpr)
	.set _ZN4vllm18convert_fp8_kernelIhtLNS_18Fp8KVCacheDataTypeE0EEEvPKT0_PT_fl.num_named_barrier, max(0, .L__assert_fail.num_named_barrier)
	.set _ZN4vllm18convert_fp8_kernelIhtLNS_18Fp8KVCacheDataTypeE0EEEvPKT0_PT_fl.private_seg_size, 0+max(.L__assert_fail.private_seg_size)
	.set _ZN4vllm18convert_fp8_kernelIhtLNS_18Fp8KVCacheDataTypeE0EEEvPKT0_PT_fl.uses_vcc, or(1, .L__assert_fail.uses_vcc)
	.set _ZN4vllm18convert_fp8_kernelIhtLNS_18Fp8KVCacheDataTypeE0EEEvPKT0_PT_fl.uses_flat_scratch, or(1, .L__assert_fail.uses_flat_scratch)
	.set _ZN4vllm18convert_fp8_kernelIhtLNS_18Fp8KVCacheDataTypeE0EEEvPKT0_PT_fl.has_dyn_sized_stack, or(0, .L__assert_fail.has_dyn_sized_stack)
	.set _ZN4vllm18convert_fp8_kernelIhtLNS_18Fp8KVCacheDataTypeE0EEEvPKT0_PT_fl.has_recursion, or(0, .L__assert_fail.has_recursion)
	.set _ZN4vllm18convert_fp8_kernelIhtLNS_18Fp8KVCacheDataTypeE0EEEvPKT0_PT_fl.has_indirect_call, or(0, .L__assert_fail.has_indirect_call)
	.section	.AMDGPU.csdata,"",@progbits
; Kernel info:
; codeLenInByte = 112
; TotalNumSgprs: 40
; NumVgprs: 41
; ScratchSize: 64
; MemoryBound: 0
; FloatMode: 240
; IeeeMode: 1
; LDSByteSize: 0 bytes/workgroup (compile time only)
; SGPRBlocks: 4
; VGPRBlocks: 10
; NumSGPRsForWavesPerEU: 40
; NumVGPRsForWavesPerEU: 41
; Occupancy: 5
; WaveLimiterHint : 1
; COMPUTE_PGM_RSRC2:SCRATCH_EN: 1
; COMPUTE_PGM_RSRC2:USER_SGPR: 8
; COMPUTE_PGM_RSRC2:TRAP_HANDLER: 0
; COMPUTE_PGM_RSRC2:TGID_X_EN: 1
; COMPUTE_PGM_RSRC2:TGID_Y_EN: 0
; COMPUTE_PGM_RSRC2:TGID_Z_EN: 0
; COMPUTE_PGM_RSRC2:TIDIG_COMP_CNT: 0
	.section	.text._ZN4vllm18convert_fp8_kernelIh14__hip_bfloat16LNS_18Fp8KVCacheDataTypeE0EEEvPKT0_PT_fl,"axG",@progbits,_ZN4vllm18convert_fp8_kernelIh14__hip_bfloat16LNS_18Fp8KVCacheDataTypeE0EEEvPKT0_PT_fl,comdat
	.protected	_ZN4vllm18convert_fp8_kernelIh14__hip_bfloat16LNS_18Fp8KVCacheDataTypeE0EEEvPKT0_PT_fl ; -- Begin function _ZN4vllm18convert_fp8_kernelIh14__hip_bfloat16LNS_18Fp8KVCacheDataTypeE0EEEvPKT0_PT_fl
	.globl	_ZN4vllm18convert_fp8_kernelIh14__hip_bfloat16LNS_18Fp8KVCacheDataTypeE0EEEvPKT0_PT_fl
	.p2align	8
	.type	_ZN4vllm18convert_fp8_kernelIh14__hip_bfloat16LNS_18Fp8KVCacheDataTypeE0EEEvPKT0_PT_fl,@function
_ZN4vllm18convert_fp8_kernelIh14__hip_bfloat16LNS_18Fp8KVCacheDataTypeE0EEEvPKT0_PT_fl: ; @_ZN4vllm18convert_fp8_kernelIh14__hip_bfloat16LNS_18Fp8KVCacheDataTypeE0EEEvPKT0_PT_fl
; %bb.0:
	s_add_u32 flat_scratch_lo, s6, s9
	s_addc_u32 flat_scratch_hi, s7, 0
	s_load_dwordx2 s[6:7], s[4:5], 0x18
	v_mov_b32_e32 v1, 0
	s_add_u32 s0, s0, s9
	s_addc_u32 s1, s1, 0
	s_mov_b32 s32, 0
	s_waitcnt lgkmcnt(0)
	v_cmp_gt_i64_e32 vcc, s[6:7], v[0:1]
	s_and_saveexec_b64 s[6:7], vcc
	s_cbranch_execz .LBB30_2
; %bb.1:
	s_add_u32 s8, s4, 32
	s_addc_u32 s9, s5, 0
	s_getpc_b64 s[4:5]
	s_add_u32 s4, s4, __PRETTY_FUNCTION__._ZN4vllm3fp814scaled_convertIh14__hip_bfloat16LNS_18Fp8KVCacheDataTypeE0EEET_RKT0_f@rel32@lo+4
	s_addc_u32 s5, s5, __PRETTY_FUNCTION__._ZN4vllm3fp814scaled_convertIh14__hip_bfloat16LNS_18Fp8KVCacheDataTypeE0EEET_RKT0_f@rel32@hi+12
	s_getpc_b64 s[6:7]
	s_add_u32 s6, s6, __assert_fail@rel32@lo+4
	s_addc_u32 s7, s7, __assert_fail@rel32@hi+12
	v_mov_b32_e32 v0, s4
	v_mov_b32_e32 v1, s5
	s_swappc_b64 s[30:31], s[6:7]
	; divergent unreachable
.LBB30_2:
	s_endpgm
	.section	.rodata,"a",@progbits
	.p2align	6, 0x0
	.amdhsa_kernel _ZN4vllm18convert_fp8_kernelIh14__hip_bfloat16LNS_18Fp8KVCacheDataTypeE0EEEvPKT0_PT_fl
		.amdhsa_group_segment_fixed_size 0
		.amdhsa_private_segment_fixed_size 64
		.amdhsa_kernarg_size 288
		.amdhsa_user_sgpr_count 8
		.amdhsa_user_sgpr_private_segment_buffer 1
		.amdhsa_user_sgpr_dispatch_ptr 0
		.amdhsa_user_sgpr_queue_ptr 0
		.amdhsa_user_sgpr_kernarg_segment_ptr 1
		.amdhsa_user_sgpr_dispatch_id 0
		.amdhsa_user_sgpr_flat_scratch_init 1
		.amdhsa_user_sgpr_private_segment_size 0
		.amdhsa_uses_dynamic_stack 0
		.amdhsa_system_sgpr_private_segment_wavefront_offset 1
		.amdhsa_system_sgpr_workgroup_id_x 1
		.amdhsa_system_sgpr_workgroup_id_y 0
		.amdhsa_system_sgpr_workgroup_id_z 0
		.amdhsa_system_sgpr_workgroup_info 0
		.amdhsa_system_vgpr_workitem_id 0
		.amdhsa_next_free_vgpr 41
		.amdhsa_next_free_sgpr 34
		.amdhsa_reserve_vcc 1
		.amdhsa_reserve_flat_scratch 1
		.amdhsa_float_round_mode_32 0
		.amdhsa_float_round_mode_16_64 0
		.amdhsa_float_denorm_mode_32 3
		.amdhsa_float_denorm_mode_16_64 3
		.amdhsa_dx10_clamp 1
		.amdhsa_ieee_mode 1
		.amdhsa_fp16_overflow 0
		.amdhsa_exception_fp_ieee_invalid_op 0
		.amdhsa_exception_fp_denorm_src 0
		.amdhsa_exception_fp_ieee_div_zero 0
		.amdhsa_exception_fp_ieee_overflow 0
		.amdhsa_exception_fp_ieee_underflow 0
		.amdhsa_exception_fp_ieee_inexact 0
		.amdhsa_exception_int_div_zero 0
	.end_amdhsa_kernel
	.section	.text._ZN4vllm18convert_fp8_kernelIh14__hip_bfloat16LNS_18Fp8KVCacheDataTypeE0EEEvPKT0_PT_fl,"axG",@progbits,_ZN4vllm18convert_fp8_kernelIh14__hip_bfloat16LNS_18Fp8KVCacheDataTypeE0EEEvPKT0_PT_fl,comdat
.Lfunc_end30:
	.size	_ZN4vllm18convert_fp8_kernelIh14__hip_bfloat16LNS_18Fp8KVCacheDataTypeE0EEEvPKT0_PT_fl, .Lfunc_end30-_ZN4vllm18convert_fp8_kernelIh14__hip_bfloat16LNS_18Fp8KVCacheDataTypeE0EEEvPKT0_PT_fl
                                        ; -- End function
	.set _ZN4vllm18convert_fp8_kernelIh14__hip_bfloat16LNS_18Fp8KVCacheDataTypeE0EEEvPKT0_PT_fl.num_vgpr, max(2, .L__assert_fail.num_vgpr)
	.set _ZN4vllm18convert_fp8_kernelIh14__hip_bfloat16LNS_18Fp8KVCacheDataTypeE0EEEvPKT0_PT_fl.num_agpr, max(0, .L__assert_fail.num_agpr)
	.set _ZN4vllm18convert_fp8_kernelIh14__hip_bfloat16LNS_18Fp8KVCacheDataTypeE0EEEvPKT0_PT_fl.numbered_sgpr, max(33, .L__assert_fail.numbered_sgpr)
	.set _ZN4vllm18convert_fp8_kernelIh14__hip_bfloat16LNS_18Fp8KVCacheDataTypeE0EEEvPKT0_PT_fl.num_named_barrier, max(0, .L__assert_fail.num_named_barrier)
	.set _ZN4vllm18convert_fp8_kernelIh14__hip_bfloat16LNS_18Fp8KVCacheDataTypeE0EEEvPKT0_PT_fl.private_seg_size, 0+max(.L__assert_fail.private_seg_size)
	.set _ZN4vllm18convert_fp8_kernelIh14__hip_bfloat16LNS_18Fp8KVCacheDataTypeE0EEEvPKT0_PT_fl.uses_vcc, or(1, .L__assert_fail.uses_vcc)
	.set _ZN4vllm18convert_fp8_kernelIh14__hip_bfloat16LNS_18Fp8KVCacheDataTypeE0EEEvPKT0_PT_fl.uses_flat_scratch, or(1, .L__assert_fail.uses_flat_scratch)
	.set _ZN4vllm18convert_fp8_kernelIh14__hip_bfloat16LNS_18Fp8KVCacheDataTypeE0EEEvPKT0_PT_fl.has_dyn_sized_stack, or(0, .L__assert_fail.has_dyn_sized_stack)
	.set _ZN4vllm18convert_fp8_kernelIh14__hip_bfloat16LNS_18Fp8KVCacheDataTypeE0EEEvPKT0_PT_fl.has_recursion, or(0, .L__assert_fail.has_recursion)
	.set _ZN4vllm18convert_fp8_kernelIh14__hip_bfloat16LNS_18Fp8KVCacheDataTypeE0EEEvPKT0_PT_fl.has_indirect_call, or(0, .L__assert_fail.has_indirect_call)
	.section	.AMDGPU.csdata,"",@progbits
; Kernel info:
; codeLenInByte = 112
; TotalNumSgprs: 40
; NumVgprs: 41
; ScratchSize: 64
; MemoryBound: 0
; FloatMode: 240
; IeeeMode: 1
; LDSByteSize: 0 bytes/workgroup (compile time only)
; SGPRBlocks: 4
; VGPRBlocks: 10
; NumSGPRsForWavesPerEU: 40
; NumVGPRsForWavesPerEU: 41
; Occupancy: 5
; WaveLimiterHint : 1
; COMPUTE_PGM_RSRC2:SCRATCH_EN: 1
; COMPUTE_PGM_RSRC2:USER_SGPR: 8
; COMPUTE_PGM_RSRC2:TRAP_HANDLER: 0
; COMPUTE_PGM_RSRC2:TGID_X_EN: 1
; COMPUTE_PGM_RSRC2:TGID_Y_EN: 0
; COMPUTE_PGM_RSRC2:TGID_Z_EN: 0
; COMPUTE_PGM_RSRC2:TIDIG_COMP_CNT: 0
	.section	.text._ZN4vllm18convert_fp8_kernelIfhLNS_18Fp8KVCacheDataTypeE0EEEvPKT0_PT_fl,"axG",@progbits,_ZN4vllm18convert_fp8_kernelIfhLNS_18Fp8KVCacheDataTypeE0EEEvPKT0_PT_fl,comdat
	.protected	_ZN4vllm18convert_fp8_kernelIfhLNS_18Fp8KVCacheDataTypeE0EEEvPKT0_PT_fl ; -- Begin function _ZN4vllm18convert_fp8_kernelIfhLNS_18Fp8KVCacheDataTypeE0EEEvPKT0_PT_fl
	.globl	_ZN4vllm18convert_fp8_kernelIfhLNS_18Fp8KVCacheDataTypeE0EEEvPKT0_PT_fl
	.p2align	8
	.type	_ZN4vllm18convert_fp8_kernelIfhLNS_18Fp8KVCacheDataTypeE0EEEvPKT0_PT_fl,@function
_ZN4vllm18convert_fp8_kernelIfhLNS_18Fp8KVCacheDataTypeE0EEEvPKT0_PT_fl: ; @_ZN4vllm18convert_fp8_kernelIfhLNS_18Fp8KVCacheDataTypeE0EEEvPKT0_PT_fl
; %bb.0:
	s_add_u32 flat_scratch_lo, s6, s9
	s_addc_u32 flat_scratch_hi, s7, 0
	s_load_dwordx2 s[6:7], s[4:5], 0x18
	v_mov_b32_e32 v1, 0
	s_add_u32 s0, s0, s9
	s_addc_u32 s1, s1, 0
	s_mov_b32 s32, 0
	s_waitcnt lgkmcnt(0)
	v_cmp_gt_i64_e32 vcc, s[6:7], v[0:1]
	s_and_saveexec_b64 s[6:7], vcc
	s_cbranch_execz .LBB31_2
; %bb.1:
	s_add_u32 s8, s4, 32
	s_addc_u32 s9, s5, 0
	s_getpc_b64 s[4:5]
	s_add_u32 s4, s4, __PRETTY_FUNCTION__._ZN4vllm3fp814scaled_convertIfhLNS_18Fp8KVCacheDataTypeE0EEET_RKT0_f@rel32@lo+4
	s_addc_u32 s5, s5, __PRETTY_FUNCTION__._ZN4vllm3fp814scaled_convertIfhLNS_18Fp8KVCacheDataTypeE0EEET_RKT0_f@rel32@hi+12
	s_getpc_b64 s[6:7]
	s_add_u32 s6, s6, __assert_fail@rel32@lo+4
	s_addc_u32 s7, s7, __assert_fail@rel32@hi+12
	v_mov_b32_e32 v0, s4
	v_mov_b32_e32 v1, s5
	s_swappc_b64 s[30:31], s[6:7]
	; divergent unreachable
.LBB31_2:
	s_endpgm
	.section	.rodata,"a",@progbits
	.p2align	6, 0x0
	.amdhsa_kernel _ZN4vllm18convert_fp8_kernelIfhLNS_18Fp8KVCacheDataTypeE0EEEvPKT0_PT_fl
		.amdhsa_group_segment_fixed_size 0
		.amdhsa_private_segment_fixed_size 64
		.amdhsa_kernarg_size 288
		.amdhsa_user_sgpr_count 8
		.amdhsa_user_sgpr_private_segment_buffer 1
		.amdhsa_user_sgpr_dispatch_ptr 0
		.amdhsa_user_sgpr_queue_ptr 0
		.amdhsa_user_sgpr_kernarg_segment_ptr 1
		.amdhsa_user_sgpr_dispatch_id 0
		.amdhsa_user_sgpr_flat_scratch_init 1
		.amdhsa_user_sgpr_private_segment_size 0
		.amdhsa_uses_dynamic_stack 0
		.amdhsa_system_sgpr_private_segment_wavefront_offset 1
		.amdhsa_system_sgpr_workgroup_id_x 1
		.amdhsa_system_sgpr_workgroup_id_y 0
		.amdhsa_system_sgpr_workgroup_id_z 0
		.amdhsa_system_sgpr_workgroup_info 0
		.amdhsa_system_vgpr_workitem_id 0
		.amdhsa_next_free_vgpr 41
		.amdhsa_next_free_sgpr 34
		.amdhsa_reserve_vcc 1
		.amdhsa_reserve_flat_scratch 1
		.amdhsa_float_round_mode_32 0
		.amdhsa_float_round_mode_16_64 0
		.amdhsa_float_denorm_mode_32 3
		.amdhsa_float_denorm_mode_16_64 3
		.amdhsa_dx10_clamp 1
		.amdhsa_ieee_mode 1
		.amdhsa_fp16_overflow 0
		.amdhsa_exception_fp_ieee_invalid_op 0
		.amdhsa_exception_fp_denorm_src 0
		.amdhsa_exception_fp_ieee_div_zero 0
		.amdhsa_exception_fp_ieee_overflow 0
		.amdhsa_exception_fp_ieee_underflow 0
		.amdhsa_exception_fp_ieee_inexact 0
		.amdhsa_exception_int_div_zero 0
	.end_amdhsa_kernel
	.section	.text._ZN4vllm18convert_fp8_kernelIfhLNS_18Fp8KVCacheDataTypeE0EEEvPKT0_PT_fl,"axG",@progbits,_ZN4vllm18convert_fp8_kernelIfhLNS_18Fp8KVCacheDataTypeE0EEEvPKT0_PT_fl,comdat
.Lfunc_end31:
	.size	_ZN4vllm18convert_fp8_kernelIfhLNS_18Fp8KVCacheDataTypeE0EEEvPKT0_PT_fl, .Lfunc_end31-_ZN4vllm18convert_fp8_kernelIfhLNS_18Fp8KVCacheDataTypeE0EEEvPKT0_PT_fl
                                        ; -- End function
	.set _ZN4vllm18convert_fp8_kernelIfhLNS_18Fp8KVCacheDataTypeE0EEEvPKT0_PT_fl.num_vgpr, max(2, .L__assert_fail.num_vgpr)
	.set _ZN4vllm18convert_fp8_kernelIfhLNS_18Fp8KVCacheDataTypeE0EEEvPKT0_PT_fl.num_agpr, max(0, .L__assert_fail.num_agpr)
	.set _ZN4vllm18convert_fp8_kernelIfhLNS_18Fp8KVCacheDataTypeE0EEEvPKT0_PT_fl.numbered_sgpr, max(33, .L__assert_fail.numbered_sgpr)
	.set _ZN4vllm18convert_fp8_kernelIfhLNS_18Fp8KVCacheDataTypeE0EEEvPKT0_PT_fl.num_named_barrier, max(0, .L__assert_fail.num_named_barrier)
	.set _ZN4vllm18convert_fp8_kernelIfhLNS_18Fp8KVCacheDataTypeE0EEEvPKT0_PT_fl.private_seg_size, 0+max(.L__assert_fail.private_seg_size)
	.set _ZN4vllm18convert_fp8_kernelIfhLNS_18Fp8KVCacheDataTypeE0EEEvPKT0_PT_fl.uses_vcc, or(1, .L__assert_fail.uses_vcc)
	.set _ZN4vllm18convert_fp8_kernelIfhLNS_18Fp8KVCacheDataTypeE0EEEvPKT0_PT_fl.uses_flat_scratch, or(1, .L__assert_fail.uses_flat_scratch)
	.set _ZN4vllm18convert_fp8_kernelIfhLNS_18Fp8KVCacheDataTypeE0EEEvPKT0_PT_fl.has_dyn_sized_stack, or(0, .L__assert_fail.has_dyn_sized_stack)
	.set _ZN4vllm18convert_fp8_kernelIfhLNS_18Fp8KVCacheDataTypeE0EEEvPKT0_PT_fl.has_recursion, or(0, .L__assert_fail.has_recursion)
	.set _ZN4vllm18convert_fp8_kernelIfhLNS_18Fp8KVCacheDataTypeE0EEEvPKT0_PT_fl.has_indirect_call, or(0, .L__assert_fail.has_indirect_call)
	.section	.AMDGPU.csdata,"",@progbits
; Kernel info:
; codeLenInByte = 112
; TotalNumSgprs: 40
; NumVgprs: 41
; ScratchSize: 64
; MemoryBound: 0
; FloatMode: 240
; IeeeMode: 1
; LDSByteSize: 0 bytes/workgroup (compile time only)
; SGPRBlocks: 4
; VGPRBlocks: 10
; NumSGPRsForWavesPerEU: 40
; NumVGPRsForWavesPerEU: 41
; Occupancy: 5
; WaveLimiterHint : 1
; COMPUTE_PGM_RSRC2:SCRATCH_EN: 1
; COMPUTE_PGM_RSRC2:USER_SGPR: 8
; COMPUTE_PGM_RSRC2:TRAP_HANDLER: 0
; COMPUTE_PGM_RSRC2:TGID_X_EN: 1
; COMPUTE_PGM_RSRC2:TGID_Y_EN: 0
; COMPUTE_PGM_RSRC2:TGID_Z_EN: 0
; COMPUTE_PGM_RSRC2:TIDIG_COMP_CNT: 0
	.section	.text._ZN4vllm18convert_fp8_kernelIthLNS_18Fp8KVCacheDataTypeE0EEEvPKT0_PT_fl,"axG",@progbits,_ZN4vllm18convert_fp8_kernelIthLNS_18Fp8KVCacheDataTypeE0EEEvPKT0_PT_fl,comdat
	.protected	_ZN4vllm18convert_fp8_kernelIthLNS_18Fp8KVCacheDataTypeE0EEEvPKT0_PT_fl ; -- Begin function _ZN4vllm18convert_fp8_kernelIthLNS_18Fp8KVCacheDataTypeE0EEEvPKT0_PT_fl
	.globl	_ZN4vllm18convert_fp8_kernelIthLNS_18Fp8KVCacheDataTypeE0EEEvPKT0_PT_fl
	.p2align	8
	.type	_ZN4vllm18convert_fp8_kernelIthLNS_18Fp8KVCacheDataTypeE0EEEvPKT0_PT_fl,@function
_ZN4vllm18convert_fp8_kernelIthLNS_18Fp8KVCacheDataTypeE0EEEvPKT0_PT_fl: ; @_ZN4vllm18convert_fp8_kernelIthLNS_18Fp8KVCacheDataTypeE0EEEvPKT0_PT_fl
; %bb.0:
	s_add_u32 flat_scratch_lo, s6, s9
	s_addc_u32 flat_scratch_hi, s7, 0
	s_load_dwordx2 s[6:7], s[4:5], 0x18
	v_mov_b32_e32 v1, 0
	s_add_u32 s0, s0, s9
	s_addc_u32 s1, s1, 0
	s_mov_b32 s32, 0
	s_waitcnt lgkmcnt(0)
	v_cmp_gt_i64_e32 vcc, s[6:7], v[0:1]
	s_and_saveexec_b64 s[6:7], vcc
	s_cbranch_execz .LBB32_2
; %bb.1:
	s_add_u32 s8, s4, 32
	s_addc_u32 s9, s5, 0
	s_getpc_b64 s[4:5]
	s_add_u32 s4, s4, __PRETTY_FUNCTION__._ZN4vllm3fp814scaled_convertIthLNS_18Fp8KVCacheDataTypeE0EEET_RKT0_f@rel32@lo+4
	s_addc_u32 s5, s5, __PRETTY_FUNCTION__._ZN4vllm3fp814scaled_convertIthLNS_18Fp8KVCacheDataTypeE0EEET_RKT0_f@rel32@hi+12
	s_getpc_b64 s[6:7]
	s_add_u32 s6, s6, __assert_fail@rel32@lo+4
	s_addc_u32 s7, s7, __assert_fail@rel32@hi+12
	v_mov_b32_e32 v0, s4
	v_mov_b32_e32 v1, s5
	s_swappc_b64 s[30:31], s[6:7]
	; divergent unreachable
.LBB32_2:
	s_endpgm
	.section	.rodata,"a",@progbits
	.p2align	6, 0x0
	.amdhsa_kernel _ZN4vllm18convert_fp8_kernelIthLNS_18Fp8KVCacheDataTypeE0EEEvPKT0_PT_fl
		.amdhsa_group_segment_fixed_size 0
		.amdhsa_private_segment_fixed_size 64
		.amdhsa_kernarg_size 288
		.amdhsa_user_sgpr_count 8
		.amdhsa_user_sgpr_private_segment_buffer 1
		.amdhsa_user_sgpr_dispatch_ptr 0
		.amdhsa_user_sgpr_queue_ptr 0
		.amdhsa_user_sgpr_kernarg_segment_ptr 1
		.amdhsa_user_sgpr_dispatch_id 0
		.amdhsa_user_sgpr_flat_scratch_init 1
		.amdhsa_user_sgpr_private_segment_size 0
		.amdhsa_uses_dynamic_stack 0
		.amdhsa_system_sgpr_private_segment_wavefront_offset 1
		.amdhsa_system_sgpr_workgroup_id_x 1
		.amdhsa_system_sgpr_workgroup_id_y 0
		.amdhsa_system_sgpr_workgroup_id_z 0
		.amdhsa_system_sgpr_workgroup_info 0
		.amdhsa_system_vgpr_workitem_id 0
		.amdhsa_next_free_vgpr 41
		.amdhsa_next_free_sgpr 34
		.amdhsa_reserve_vcc 1
		.amdhsa_reserve_flat_scratch 1
		.amdhsa_float_round_mode_32 0
		.amdhsa_float_round_mode_16_64 0
		.amdhsa_float_denorm_mode_32 3
		.amdhsa_float_denorm_mode_16_64 3
		.amdhsa_dx10_clamp 1
		.amdhsa_ieee_mode 1
		.amdhsa_fp16_overflow 0
		.amdhsa_exception_fp_ieee_invalid_op 0
		.amdhsa_exception_fp_denorm_src 0
		.amdhsa_exception_fp_ieee_div_zero 0
		.amdhsa_exception_fp_ieee_overflow 0
		.amdhsa_exception_fp_ieee_underflow 0
		.amdhsa_exception_fp_ieee_inexact 0
		.amdhsa_exception_int_div_zero 0
	.end_amdhsa_kernel
	.section	.text._ZN4vllm18convert_fp8_kernelIthLNS_18Fp8KVCacheDataTypeE0EEEvPKT0_PT_fl,"axG",@progbits,_ZN4vllm18convert_fp8_kernelIthLNS_18Fp8KVCacheDataTypeE0EEEvPKT0_PT_fl,comdat
.Lfunc_end32:
	.size	_ZN4vllm18convert_fp8_kernelIthLNS_18Fp8KVCacheDataTypeE0EEEvPKT0_PT_fl, .Lfunc_end32-_ZN4vllm18convert_fp8_kernelIthLNS_18Fp8KVCacheDataTypeE0EEEvPKT0_PT_fl
                                        ; -- End function
	.set _ZN4vllm18convert_fp8_kernelIthLNS_18Fp8KVCacheDataTypeE0EEEvPKT0_PT_fl.num_vgpr, max(2, .L__assert_fail.num_vgpr)
	.set _ZN4vllm18convert_fp8_kernelIthLNS_18Fp8KVCacheDataTypeE0EEEvPKT0_PT_fl.num_agpr, max(0, .L__assert_fail.num_agpr)
	.set _ZN4vllm18convert_fp8_kernelIthLNS_18Fp8KVCacheDataTypeE0EEEvPKT0_PT_fl.numbered_sgpr, max(33, .L__assert_fail.numbered_sgpr)
	.set _ZN4vllm18convert_fp8_kernelIthLNS_18Fp8KVCacheDataTypeE0EEEvPKT0_PT_fl.num_named_barrier, max(0, .L__assert_fail.num_named_barrier)
	.set _ZN4vllm18convert_fp8_kernelIthLNS_18Fp8KVCacheDataTypeE0EEEvPKT0_PT_fl.private_seg_size, 0+max(.L__assert_fail.private_seg_size)
	.set _ZN4vllm18convert_fp8_kernelIthLNS_18Fp8KVCacheDataTypeE0EEEvPKT0_PT_fl.uses_vcc, or(1, .L__assert_fail.uses_vcc)
	.set _ZN4vllm18convert_fp8_kernelIthLNS_18Fp8KVCacheDataTypeE0EEEvPKT0_PT_fl.uses_flat_scratch, or(1, .L__assert_fail.uses_flat_scratch)
	.set _ZN4vllm18convert_fp8_kernelIthLNS_18Fp8KVCacheDataTypeE0EEEvPKT0_PT_fl.has_dyn_sized_stack, or(0, .L__assert_fail.has_dyn_sized_stack)
	.set _ZN4vllm18convert_fp8_kernelIthLNS_18Fp8KVCacheDataTypeE0EEEvPKT0_PT_fl.has_recursion, or(0, .L__assert_fail.has_recursion)
	.set _ZN4vllm18convert_fp8_kernelIthLNS_18Fp8KVCacheDataTypeE0EEEvPKT0_PT_fl.has_indirect_call, or(0, .L__assert_fail.has_indirect_call)
	.section	.AMDGPU.csdata,"",@progbits
; Kernel info:
; codeLenInByte = 112
; TotalNumSgprs: 40
; NumVgprs: 41
; ScratchSize: 64
; MemoryBound: 0
; FloatMode: 240
; IeeeMode: 1
; LDSByteSize: 0 bytes/workgroup (compile time only)
; SGPRBlocks: 4
; VGPRBlocks: 10
; NumSGPRsForWavesPerEU: 40
; NumVGPRsForWavesPerEU: 41
; Occupancy: 5
; WaveLimiterHint : 1
; COMPUTE_PGM_RSRC2:SCRATCH_EN: 1
; COMPUTE_PGM_RSRC2:USER_SGPR: 8
; COMPUTE_PGM_RSRC2:TRAP_HANDLER: 0
; COMPUTE_PGM_RSRC2:TGID_X_EN: 1
; COMPUTE_PGM_RSRC2:TGID_Y_EN: 0
; COMPUTE_PGM_RSRC2:TGID_Z_EN: 0
; COMPUTE_PGM_RSRC2:TIDIG_COMP_CNT: 0
	.section	.text._ZN4vllm18convert_fp8_kernelI14__hip_bfloat16hLNS_18Fp8KVCacheDataTypeE0EEEvPKT0_PT_fl,"axG",@progbits,_ZN4vllm18convert_fp8_kernelI14__hip_bfloat16hLNS_18Fp8KVCacheDataTypeE0EEEvPKT0_PT_fl,comdat
	.protected	_ZN4vllm18convert_fp8_kernelI14__hip_bfloat16hLNS_18Fp8KVCacheDataTypeE0EEEvPKT0_PT_fl ; -- Begin function _ZN4vllm18convert_fp8_kernelI14__hip_bfloat16hLNS_18Fp8KVCacheDataTypeE0EEEvPKT0_PT_fl
	.globl	_ZN4vllm18convert_fp8_kernelI14__hip_bfloat16hLNS_18Fp8KVCacheDataTypeE0EEEvPKT0_PT_fl
	.p2align	8
	.type	_ZN4vllm18convert_fp8_kernelI14__hip_bfloat16hLNS_18Fp8KVCacheDataTypeE0EEEvPKT0_PT_fl,@function
_ZN4vllm18convert_fp8_kernelI14__hip_bfloat16hLNS_18Fp8KVCacheDataTypeE0EEEvPKT0_PT_fl: ; @_ZN4vllm18convert_fp8_kernelI14__hip_bfloat16hLNS_18Fp8KVCacheDataTypeE0EEEvPKT0_PT_fl
; %bb.0:
	s_add_u32 flat_scratch_lo, s6, s9
	s_addc_u32 flat_scratch_hi, s7, 0
	s_load_dwordx2 s[6:7], s[4:5], 0x18
	v_mov_b32_e32 v1, 0
	s_add_u32 s0, s0, s9
	s_addc_u32 s1, s1, 0
	s_mov_b32 s32, 0
	s_waitcnt lgkmcnt(0)
	v_cmp_gt_i64_e32 vcc, s[6:7], v[0:1]
	s_and_saveexec_b64 s[6:7], vcc
	s_cbranch_execz .LBB33_2
; %bb.1:
	s_add_u32 s8, s4, 32
	s_addc_u32 s9, s5, 0
	s_getpc_b64 s[4:5]
	s_add_u32 s4, s4, __PRETTY_FUNCTION__._ZN4vllm3fp814scaled_convertI14__hip_bfloat16hLNS_18Fp8KVCacheDataTypeE0EEET_RKT0_f@rel32@lo+4
	s_addc_u32 s5, s5, __PRETTY_FUNCTION__._ZN4vllm3fp814scaled_convertI14__hip_bfloat16hLNS_18Fp8KVCacheDataTypeE0EEET_RKT0_f@rel32@hi+12
	s_getpc_b64 s[6:7]
	s_add_u32 s6, s6, __assert_fail@rel32@lo+4
	s_addc_u32 s7, s7, __assert_fail@rel32@hi+12
	v_mov_b32_e32 v0, s4
	v_mov_b32_e32 v1, s5
	s_swappc_b64 s[30:31], s[6:7]
	; divergent unreachable
.LBB33_2:
	s_endpgm
	.section	.rodata,"a",@progbits
	.p2align	6, 0x0
	.amdhsa_kernel _ZN4vllm18convert_fp8_kernelI14__hip_bfloat16hLNS_18Fp8KVCacheDataTypeE0EEEvPKT0_PT_fl
		.amdhsa_group_segment_fixed_size 0
		.amdhsa_private_segment_fixed_size 64
		.amdhsa_kernarg_size 288
		.amdhsa_user_sgpr_count 8
		.amdhsa_user_sgpr_private_segment_buffer 1
		.amdhsa_user_sgpr_dispatch_ptr 0
		.amdhsa_user_sgpr_queue_ptr 0
		.amdhsa_user_sgpr_kernarg_segment_ptr 1
		.amdhsa_user_sgpr_dispatch_id 0
		.amdhsa_user_sgpr_flat_scratch_init 1
		.amdhsa_user_sgpr_private_segment_size 0
		.amdhsa_uses_dynamic_stack 0
		.amdhsa_system_sgpr_private_segment_wavefront_offset 1
		.amdhsa_system_sgpr_workgroup_id_x 1
		.amdhsa_system_sgpr_workgroup_id_y 0
		.amdhsa_system_sgpr_workgroup_id_z 0
		.amdhsa_system_sgpr_workgroup_info 0
		.amdhsa_system_vgpr_workitem_id 0
		.amdhsa_next_free_vgpr 41
		.amdhsa_next_free_sgpr 34
		.amdhsa_reserve_vcc 1
		.amdhsa_reserve_flat_scratch 1
		.amdhsa_float_round_mode_32 0
		.amdhsa_float_round_mode_16_64 0
		.amdhsa_float_denorm_mode_32 3
		.amdhsa_float_denorm_mode_16_64 3
		.amdhsa_dx10_clamp 1
		.amdhsa_ieee_mode 1
		.amdhsa_fp16_overflow 0
		.amdhsa_exception_fp_ieee_invalid_op 0
		.amdhsa_exception_fp_denorm_src 0
		.amdhsa_exception_fp_ieee_div_zero 0
		.amdhsa_exception_fp_ieee_overflow 0
		.amdhsa_exception_fp_ieee_underflow 0
		.amdhsa_exception_fp_ieee_inexact 0
		.amdhsa_exception_int_div_zero 0
	.end_amdhsa_kernel
	.section	.text._ZN4vllm18convert_fp8_kernelI14__hip_bfloat16hLNS_18Fp8KVCacheDataTypeE0EEEvPKT0_PT_fl,"axG",@progbits,_ZN4vllm18convert_fp8_kernelI14__hip_bfloat16hLNS_18Fp8KVCacheDataTypeE0EEEvPKT0_PT_fl,comdat
.Lfunc_end33:
	.size	_ZN4vllm18convert_fp8_kernelI14__hip_bfloat16hLNS_18Fp8KVCacheDataTypeE0EEEvPKT0_PT_fl, .Lfunc_end33-_ZN4vllm18convert_fp8_kernelI14__hip_bfloat16hLNS_18Fp8KVCacheDataTypeE0EEEvPKT0_PT_fl
                                        ; -- End function
	.set _ZN4vllm18convert_fp8_kernelI14__hip_bfloat16hLNS_18Fp8KVCacheDataTypeE0EEEvPKT0_PT_fl.num_vgpr, max(2, .L__assert_fail.num_vgpr)
	.set _ZN4vllm18convert_fp8_kernelI14__hip_bfloat16hLNS_18Fp8KVCacheDataTypeE0EEEvPKT0_PT_fl.num_agpr, max(0, .L__assert_fail.num_agpr)
	.set _ZN4vllm18convert_fp8_kernelI14__hip_bfloat16hLNS_18Fp8KVCacheDataTypeE0EEEvPKT0_PT_fl.numbered_sgpr, max(33, .L__assert_fail.numbered_sgpr)
	.set _ZN4vllm18convert_fp8_kernelI14__hip_bfloat16hLNS_18Fp8KVCacheDataTypeE0EEEvPKT0_PT_fl.num_named_barrier, max(0, .L__assert_fail.num_named_barrier)
	.set _ZN4vllm18convert_fp8_kernelI14__hip_bfloat16hLNS_18Fp8KVCacheDataTypeE0EEEvPKT0_PT_fl.private_seg_size, 0+max(.L__assert_fail.private_seg_size)
	.set _ZN4vllm18convert_fp8_kernelI14__hip_bfloat16hLNS_18Fp8KVCacheDataTypeE0EEEvPKT0_PT_fl.uses_vcc, or(1, .L__assert_fail.uses_vcc)
	.set _ZN4vllm18convert_fp8_kernelI14__hip_bfloat16hLNS_18Fp8KVCacheDataTypeE0EEEvPKT0_PT_fl.uses_flat_scratch, or(1, .L__assert_fail.uses_flat_scratch)
	.set _ZN4vllm18convert_fp8_kernelI14__hip_bfloat16hLNS_18Fp8KVCacheDataTypeE0EEEvPKT0_PT_fl.has_dyn_sized_stack, or(0, .L__assert_fail.has_dyn_sized_stack)
	.set _ZN4vllm18convert_fp8_kernelI14__hip_bfloat16hLNS_18Fp8KVCacheDataTypeE0EEEvPKT0_PT_fl.has_recursion, or(0, .L__assert_fail.has_recursion)
	.set _ZN4vllm18convert_fp8_kernelI14__hip_bfloat16hLNS_18Fp8KVCacheDataTypeE0EEEvPKT0_PT_fl.has_indirect_call, or(0, .L__assert_fail.has_indirect_call)
	.section	.AMDGPU.csdata,"",@progbits
; Kernel info:
; codeLenInByte = 112
; TotalNumSgprs: 40
; NumVgprs: 41
; ScratchSize: 64
; MemoryBound: 0
; FloatMode: 240
; IeeeMode: 1
; LDSByteSize: 0 bytes/workgroup (compile time only)
; SGPRBlocks: 4
; VGPRBlocks: 10
; NumSGPRsForWavesPerEU: 40
; NumVGPRsForWavesPerEU: 41
; Occupancy: 5
; WaveLimiterHint : 1
; COMPUTE_PGM_RSRC2:SCRATCH_EN: 1
; COMPUTE_PGM_RSRC2:USER_SGPR: 8
; COMPUTE_PGM_RSRC2:TRAP_HANDLER: 0
; COMPUTE_PGM_RSRC2:TGID_X_EN: 1
; COMPUTE_PGM_RSRC2:TGID_Y_EN: 0
; COMPUTE_PGM_RSRC2:TGID_Z_EN: 0
; COMPUTE_PGM_RSRC2:TIDIG_COMP_CNT: 0
	.section	.text._ZN4vllm18convert_fp8_kernelIhfLNS_18Fp8KVCacheDataTypeE1EEEvPKT0_PT_fl,"axG",@progbits,_ZN4vllm18convert_fp8_kernelIhfLNS_18Fp8KVCacheDataTypeE1EEEvPKT0_PT_fl,comdat
	.protected	_ZN4vllm18convert_fp8_kernelIhfLNS_18Fp8KVCacheDataTypeE1EEEvPKT0_PT_fl ; -- Begin function _ZN4vllm18convert_fp8_kernelIhfLNS_18Fp8KVCacheDataTypeE1EEEvPKT0_PT_fl
	.globl	_ZN4vllm18convert_fp8_kernelIhfLNS_18Fp8KVCacheDataTypeE1EEEvPKT0_PT_fl
	.p2align	8
	.type	_ZN4vllm18convert_fp8_kernelIhfLNS_18Fp8KVCacheDataTypeE1EEEvPKT0_PT_fl,@function
_ZN4vllm18convert_fp8_kernelIhfLNS_18Fp8KVCacheDataTypeE1EEEvPKT0_PT_fl: ; @_ZN4vllm18convert_fp8_kernelIhfLNS_18Fp8KVCacheDataTypeE1EEEvPKT0_PT_fl
; %bb.0:
	s_load_dwordx2 s[2:3], s[4:5], 0x18
	v_mov_b32_e32 v1, 0
	s_waitcnt lgkmcnt(0)
	v_cmp_gt_i64_e32 vcc, s[2:3], v[0:1]
	s_and_saveexec_b64 s[0:1], vcc
	s_cbranch_execz .LBB34_23
; %bb.1:
	s_load_dwordx4 s[8:11], s[4:5], 0x0
	s_load_dword s24, s[4:5], 0x10
	s_load_dword s0, s[4:5], 0x2c
	s_mul_i32 s1, s3, s6
	s_mul_hi_u32 s4, s2, s6
	s_add_i32 s1, s4, s1
	v_mov_b32_e32 v4, v1
	s_waitcnt lgkmcnt(0)
	s_and_b32 s26, s0, 0xffff
	s_mul_i32 s25, s2, s6
	v_add_u32_e32 v2, s26, v0
	s_mov_b64 s[4:5], 0
	v_mov_b32_e32 v8, s1
	v_mov_b32_e32 v9, s9
	s_mov_b64 s[6:7], 0x7f800000
	s_movk_i32 s9, 0x80
	s_mov_b64 s[12:13], 0x43e00001
	s_movk_i32 s27, 0x7a
	;; [unrolled: 2-line block ×3, first 2 shown]
	v_mov_b32_e32 v10, 0x78
	v_mov_b32_e32 v11, 0xffffff82
	v_mov_b32_e32 v3, v0
	s_branch .LBB34_3
.LBB34_2:                               ;   in Loop: Header=BB34_3 Depth=1
	s_or_b64 exec, exec, s[0:1]
	v_mov_b32_e32 v5, s11
	v_add_co_u32_e32 v3, vcc, s10, v3
	v_addc_co_u32_e32 v4, vcc, v5, v4, vcc
	global_store_byte v[3:4], v0, off
	v_ashrrev_i32_e32 v3, 31, v2
	v_cmp_le_i64_e32 vcc, s[2:3], v[2:3]
	v_mov_b32_e32 v4, v3
	v_mov_b32_e32 v3, v2
	s_or_b64 s[4:5], vcc, s[4:5]
	v_add_u32_e32 v2, s26, v2
	s_andn2_b64 exec, exec, s[4:5]
	s_cbranch_execz .LBB34_23
.LBB34_3:                               ; =>This Inner Loop Header: Depth=1
	v_add_co_u32_e32 v3, vcc, s25, v3
	v_addc_co_u32_e32 v4, vcc, v4, v8, vcc
	v_lshlrev_b64 v[5:6], 2, v[3:4]
	v_add_co_u32_e32 v5, vcc, s8, v5
	v_addc_co_u32_e32 v6, vcc, v9, v6, vcc
	global_load_dword v0, v[5:6], off
	s_waitcnt vmcnt(0)
	v_div_scale_f32 v5, s[0:1], s24, s24, v0
	v_div_scale_f32 v6, vcc, v0, s24, v0
	v_rcp_f32_e32 v7, v5
	v_fma_f32 v12, -v5, v7, 1.0
	v_fmac_f32_e32 v7, v12, v7
	v_mul_f32_e32 v12, v6, v7
	v_fma_f32 v13, -v5, v12, v6
	v_fmac_f32_e32 v12, v13, v7
	v_fma_f32 v5, -v5, v12, v6
	v_div_fmas_f32 v5, v5, v7, v12
	v_div_fixup_f32 v5, v5, s24, v0
	v_and_b32_e32 v0, 0x7f800000, v5
	v_cmp_ne_u64_e32 vcc, s[6:7], v[0:1]
                                        ; implicit-def: $vgpr0
	s_and_saveexec_b64 s[0:1], vcc
	s_xor_b64 s[16:17], exec, s[0:1]
	s_cbranch_execz .LBB34_21
; %bb.4:                                ;   in Loop: Header=BB34_3 Depth=1
	v_and_b32_e32 v0, 0x7fffffff, v5
	v_cmp_gt_u64_e32 vcc, s[12:13], v[0:1]
	v_and_b32_sdwa v12, v5, s9 dst_sel:DWORD dst_unused:UNUSED_PAD src0_sel:BYTE_3 src1_sel:DWORD
                                        ; implicit-def: $vgpr0
	s_and_saveexec_b64 s[0:1], vcc
	s_xor_b64 s[18:19], exec, s[0:1]
	s_cbranch_execz .LBB34_18
; %bb.5:                                ;   in Loop: Header=BB34_3 Depth=1
	v_cmp_ne_u32_e32 vcc, 0, v5
	v_mov_b32_e32 v0, 0
	s_and_saveexec_b64 s[20:21], vcc
	s_cbranch_execz .LBB34_17
; %bb.6:                                ;   in Loop: Header=BB34_3 Depth=1
	v_bfe_u32 v13, v5, 23, 8
	v_and_b32_e32 v0, 0x7fffff, v5
	v_sub_u32_e32 v5, 0x79, v13
	v_cmp_gt_u32_e32 vcc, s27, v13
	v_cndmask_b32_e32 v5, 0, v5, vcc
	v_cmp_eq_u32_e32 vcc, 0, v13
	v_cndmask_b32_e32 v14, v5, v10, vcc
	v_add_u32_e32 v5, 20, v14
	v_or_b32_e32 v7, 0x800000, v0
	v_lshlrev_b64 v[5:6], v5, -1
	v_cndmask_b32_e32 v0, v7, v0, vcc
	v_bfi_b32 v15, v5, 0, v0
	v_add_u32_e32 v5, 19, v14
	v_bfi_b32 v16, v6, 0, 0
	v_lshlrev_b64 v[17:18], v5, 1
	v_lshrrev_b64 v[5:6], v14, v[0:1]
	v_cmp_eq_u64_e64 s[0:1], v[15:16], v[17:18]
	v_mov_b32_e32 v7, v6
	v_mov_b32_e32 v6, v5
	s_and_saveexec_b64 s[22:23], s[0:1]
; %bb.7:                                ;   in Loop: Header=BB34_3 Depth=1
	v_bfe_u32 v0, v5, 20, 1
	v_add_co_u32_e64 v0, s[0:1], v5, v0
	v_add_co_u32_e64 v6, s[0:1], -1, v0
; %bb.8:                                ;   in Loop: Header=BB34_3 Depth=1
	s_or_b64 exec, exec, s[22:23]
	v_add_u32_e32 v0, 0xffffff81, v13
	v_cndmask_b32_e32 v0, v0, v11, vcc
	v_lshrrev_b32_e32 v7, 23, v5
	v_add3_u32 v14, v14, v0, v7
	v_add_u32_e32 v13, 6, v14
	v_and_b32_e32 v0, 0xfffff, v6
	v_add_u32_e32 v0, v0, v5
	v_cmp_ne_u32_e32 vcc, 0, v13
                                        ; implicit-def: $vgpr5_vgpr6
                                        ; implicit-def: $vgpr7
	s_and_saveexec_b64 s[0:1], vcc
	s_xor_b64 s[0:1], exec, s[0:1]
; %bb.9:                                ;   in Loop: Header=BB34_3 Depth=1
	v_cmp_lt_u64_e32 vcc, s[14:15], v[0:1]
	v_add_u32_e32 v5, 7, v14
	v_cndmask_b32_e32 v7, v13, v5, vcc
	v_cndmask_b32_e64 v5, 0, 1, vcc
	v_lshrrev_b64 v[5:6], v5, v[0:1]
; %bb.10:                               ;   in Loop: Header=BB34_3 Depth=1
	s_andn2_saveexec_b64 s[0:1], s[0:1]
; %bb.11:                               ;   in Loop: Header=BB34_3 Depth=1
	v_mov_b32_e32 v6, v1
	v_bfe_u32 v7, v0, 23, 1
	v_mov_b32_e32 v5, v0
; %bb.12:                               ;   in Loop: Header=BB34_3 Depth=1
	s_or_b64 exec, exec, s[0:1]
	v_lshrrev_b64 v[5:6], 20, v[5:6]
	v_cmp_gt_i32_e32 vcc, 16, v7
	v_cndmask_b32_e32 v6, 0, v6, vcc
	v_cndmask_b32_e32 v5, 7, v5, vcc
	v_cmp_ne_u64_e32 vcc, 0, v[5:6]
	v_cmp_ne_u32_e64 s[0:1], 0, v7
	s_or_b64 s[0:1], s[0:1], vcc
                                        ; implicit-def: $vgpr0
	s_and_saveexec_b64 s[22:23], s[0:1]
	s_xor_b64 s[0:1], exec, s[22:23]
; %bb.13:                               ;   in Loop: Header=BB34_3 Depth=1
	v_min_i32_e32 v0, 15, v7
	v_lshl_or_b32 v0, v0, 3, v12
	v_and_or_b32 v0, v5, 7, v0
                                        ; implicit-def: $vgpr12
; %bb.14:                               ;   in Loop: Header=BB34_3 Depth=1
	s_andn2_saveexec_b64 s[0:1], s[0:1]
; %bb.15:                               ;   in Loop: Header=BB34_3 Depth=1
	v_mov_b32_e32 v0, v12
; %bb.16:                               ;   in Loop: Header=BB34_3 Depth=1
	s_or_b64 exec, exec, s[0:1]
.LBB34_17:                              ;   in Loop: Header=BB34_3 Depth=1
	s_or_b64 exec, exec, s[20:21]
                                        ; implicit-def: $vgpr12
.LBB34_18:                              ;   in Loop: Header=BB34_3 Depth=1
	s_andn2_saveexec_b64 s[0:1], s[18:19]
; %bb.19:                               ;   in Loop: Header=BB34_3 Depth=1
	v_or_b32_e32 v0, 0x7e, v12
; %bb.20:                               ;   in Loop: Header=BB34_3 Depth=1
	s_or_b64 exec, exec, s[0:1]
                                        ; implicit-def: $vgpr5
.LBB34_21:                              ;   in Loop: Header=BB34_3 Depth=1
	s_andn2_saveexec_b64 s[0:1], s[16:17]
	s_cbranch_execz .LBB34_2
; %bb.22:                               ;   in Loop: Header=BB34_3 Depth=1
	v_or_b32_sdwa v0, v5, s28 dst_sel:DWORD dst_unused:UNUSED_PAD src0_sel:BYTE_3 src1_sel:DWORD
	s_branch .LBB34_2
.LBB34_23:
	s_endpgm
	.section	.rodata,"a",@progbits
	.p2align	6, 0x0
	.amdhsa_kernel _ZN4vllm18convert_fp8_kernelIhfLNS_18Fp8KVCacheDataTypeE1EEEvPKT0_PT_fl
		.amdhsa_group_segment_fixed_size 0
		.amdhsa_private_segment_fixed_size 0
		.amdhsa_kernarg_size 288
		.amdhsa_user_sgpr_count 6
		.amdhsa_user_sgpr_private_segment_buffer 1
		.amdhsa_user_sgpr_dispatch_ptr 0
		.amdhsa_user_sgpr_queue_ptr 0
		.amdhsa_user_sgpr_kernarg_segment_ptr 1
		.amdhsa_user_sgpr_dispatch_id 0
		.amdhsa_user_sgpr_flat_scratch_init 0
		.amdhsa_user_sgpr_private_segment_size 0
		.amdhsa_uses_dynamic_stack 0
		.amdhsa_system_sgpr_private_segment_wavefront_offset 0
		.amdhsa_system_sgpr_workgroup_id_x 1
		.amdhsa_system_sgpr_workgroup_id_y 0
		.amdhsa_system_sgpr_workgroup_id_z 0
		.amdhsa_system_sgpr_workgroup_info 0
		.amdhsa_system_vgpr_workitem_id 0
		.amdhsa_next_free_vgpr 19
		.amdhsa_next_free_sgpr 29
		.amdhsa_reserve_vcc 1
		.amdhsa_reserve_flat_scratch 0
		.amdhsa_float_round_mode_32 0
		.amdhsa_float_round_mode_16_64 0
		.amdhsa_float_denorm_mode_32 3
		.amdhsa_float_denorm_mode_16_64 3
		.amdhsa_dx10_clamp 1
		.amdhsa_ieee_mode 1
		.amdhsa_fp16_overflow 0
		.amdhsa_exception_fp_ieee_invalid_op 0
		.amdhsa_exception_fp_denorm_src 0
		.amdhsa_exception_fp_ieee_div_zero 0
		.amdhsa_exception_fp_ieee_overflow 0
		.amdhsa_exception_fp_ieee_underflow 0
		.amdhsa_exception_fp_ieee_inexact 0
		.amdhsa_exception_int_div_zero 0
	.end_amdhsa_kernel
	.section	.text._ZN4vllm18convert_fp8_kernelIhfLNS_18Fp8KVCacheDataTypeE1EEEvPKT0_PT_fl,"axG",@progbits,_ZN4vllm18convert_fp8_kernelIhfLNS_18Fp8KVCacheDataTypeE1EEEvPKT0_PT_fl,comdat
.Lfunc_end34:
	.size	_ZN4vllm18convert_fp8_kernelIhfLNS_18Fp8KVCacheDataTypeE1EEEvPKT0_PT_fl, .Lfunc_end34-_ZN4vllm18convert_fp8_kernelIhfLNS_18Fp8KVCacheDataTypeE1EEEvPKT0_PT_fl
                                        ; -- End function
	.set _ZN4vllm18convert_fp8_kernelIhfLNS_18Fp8KVCacheDataTypeE1EEEvPKT0_PT_fl.num_vgpr, 19
	.set _ZN4vllm18convert_fp8_kernelIhfLNS_18Fp8KVCacheDataTypeE1EEEvPKT0_PT_fl.num_agpr, 0
	.set _ZN4vllm18convert_fp8_kernelIhfLNS_18Fp8KVCacheDataTypeE1EEEvPKT0_PT_fl.numbered_sgpr, 29
	.set _ZN4vllm18convert_fp8_kernelIhfLNS_18Fp8KVCacheDataTypeE1EEEvPKT0_PT_fl.num_named_barrier, 0
	.set _ZN4vllm18convert_fp8_kernelIhfLNS_18Fp8KVCacheDataTypeE1EEEvPKT0_PT_fl.private_seg_size, 0
	.set _ZN4vllm18convert_fp8_kernelIhfLNS_18Fp8KVCacheDataTypeE1EEEvPKT0_PT_fl.uses_vcc, 1
	.set _ZN4vllm18convert_fp8_kernelIhfLNS_18Fp8KVCacheDataTypeE1EEEvPKT0_PT_fl.uses_flat_scratch, 0
	.set _ZN4vllm18convert_fp8_kernelIhfLNS_18Fp8KVCacheDataTypeE1EEEvPKT0_PT_fl.has_dyn_sized_stack, 0
	.set _ZN4vllm18convert_fp8_kernelIhfLNS_18Fp8KVCacheDataTypeE1EEEvPKT0_PT_fl.has_recursion, 0
	.set _ZN4vllm18convert_fp8_kernelIhfLNS_18Fp8KVCacheDataTypeE1EEEvPKT0_PT_fl.has_indirect_call, 0
	.section	.AMDGPU.csdata,"",@progbits
; Kernel info:
; codeLenInByte = 768
; TotalNumSgprs: 33
; NumVgprs: 19
; ScratchSize: 0
; MemoryBound: 0
; FloatMode: 240
; IeeeMode: 1
; LDSByteSize: 0 bytes/workgroup (compile time only)
; SGPRBlocks: 4
; VGPRBlocks: 4
; NumSGPRsForWavesPerEU: 33
; NumVGPRsForWavesPerEU: 19
; Occupancy: 10
; WaveLimiterHint : 0
; COMPUTE_PGM_RSRC2:SCRATCH_EN: 0
; COMPUTE_PGM_RSRC2:USER_SGPR: 6
; COMPUTE_PGM_RSRC2:TRAP_HANDLER: 0
; COMPUTE_PGM_RSRC2:TGID_X_EN: 1
; COMPUTE_PGM_RSRC2:TGID_Y_EN: 0
; COMPUTE_PGM_RSRC2:TGID_Z_EN: 0
; COMPUTE_PGM_RSRC2:TIDIG_COMP_CNT: 0
	.section	.text._ZN4vllm18convert_fp8_kernelIhtLNS_18Fp8KVCacheDataTypeE1EEEvPKT0_PT_fl,"axG",@progbits,_ZN4vllm18convert_fp8_kernelIhtLNS_18Fp8KVCacheDataTypeE1EEEvPKT0_PT_fl,comdat
	.protected	_ZN4vllm18convert_fp8_kernelIhtLNS_18Fp8KVCacheDataTypeE1EEEvPKT0_PT_fl ; -- Begin function _ZN4vllm18convert_fp8_kernelIhtLNS_18Fp8KVCacheDataTypeE1EEEvPKT0_PT_fl
	.globl	_ZN4vllm18convert_fp8_kernelIhtLNS_18Fp8KVCacheDataTypeE1EEEvPKT0_PT_fl
	.p2align	8
	.type	_ZN4vllm18convert_fp8_kernelIhtLNS_18Fp8KVCacheDataTypeE1EEEvPKT0_PT_fl,@function
_ZN4vllm18convert_fp8_kernelIhtLNS_18Fp8KVCacheDataTypeE1EEEvPKT0_PT_fl: ; @_ZN4vllm18convert_fp8_kernelIhtLNS_18Fp8KVCacheDataTypeE1EEEvPKT0_PT_fl
; %bb.0:
	s_load_dwordx2 s[2:3], s[4:5], 0x18
	v_mov_b32_e32 v1, 0
	s_waitcnt lgkmcnt(0)
	v_cmp_gt_i64_e32 vcc, s[2:3], v[0:1]
	s_and_saveexec_b64 s[0:1], vcc
	s_cbranch_execz .LBB35_23
; %bb.1:
	s_load_dwordx4 s[8:11], s[4:5], 0x0
	s_load_dword s24, s[4:5], 0x10
	s_load_dword s0, s[4:5], 0x2c
	s_mul_i32 s1, s3, s6
	s_mul_hi_u32 s4, s2, s6
	s_add_i32 s1, s4, s1
	v_mov_b32_e32 v4, v1
	s_waitcnt lgkmcnt(0)
	s_and_b32 s26, s0, 0xffff
	s_mul_i32 s25, s2, s6
	v_add_u32_e32 v2, s26, v0
	s_mov_b64 s[4:5], 0
	v_mov_b32_e32 v8, s1
	v_mov_b32_e32 v9, s9
	s_mov_b64 s[6:7], 0x7f800000
	s_movk_i32 s9, 0x80
	s_mov_b64 s[12:13], 0x43e00001
	s_movk_i32 s27, 0x7a
	;; [unrolled: 2-line block ×3, first 2 shown]
	v_mov_b32_e32 v10, 0x78
	v_mov_b32_e32 v11, 0xffffff82
	;; [unrolled: 1-line block ×3, first 2 shown]
	s_branch .LBB35_3
.LBB35_2:                               ;   in Loop: Header=BB35_3 Depth=1
	s_or_b64 exec, exec, s[0:1]
	v_mov_b32_e32 v5, s11
	v_add_co_u32_e32 v3, vcc, s10, v3
	v_addc_co_u32_e32 v4, vcc, v5, v4, vcc
	global_store_byte v[3:4], v0, off
	v_ashrrev_i32_e32 v3, 31, v2
	v_cmp_le_i64_e32 vcc, s[2:3], v[2:3]
	v_mov_b32_e32 v4, v3
	v_mov_b32_e32 v3, v2
	s_or_b64 s[4:5], vcc, s[4:5]
	v_add_u32_e32 v2, s26, v2
	s_andn2_b64 exec, exec, s[4:5]
	s_cbranch_execz .LBB35_23
.LBB35_3:                               ; =>This Inner Loop Header: Depth=1
	v_add_co_u32_e32 v3, vcc, s25, v3
	v_addc_co_u32_e32 v4, vcc, v4, v8, vcc
	v_lshlrev_b64 v[5:6], 1, v[3:4]
	v_add_co_u32_e32 v5, vcc, s8, v5
	v_addc_co_u32_e32 v6, vcc, v9, v6, vcc
	global_load_ushort v0, v[5:6], off
	s_waitcnt vmcnt(0)
	v_cvt_f32_f16_e32 v0, v0
	v_div_scale_f32 v5, s[0:1], s24, s24, v0
	v_div_scale_f32 v6, vcc, v0, s24, v0
	v_rcp_f32_e32 v7, v5
	v_fma_f32 v12, -v5, v7, 1.0
	v_fmac_f32_e32 v7, v12, v7
	v_mul_f32_e32 v12, v6, v7
	v_fma_f32 v13, -v5, v12, v6
	v_fmac_f32_e32 v12, v13, v7
	v_fma_f32 v5, -v5, v12, v6
	v_div_fmas_f32 v5, v5, v7, v12
	v_div_fixup_f32 v0, v5, s24, v0
	v_cvt_f16_f32_e32 v0, v0
	v_cvt_f32_f16_e32 v5, v0
	v_and_b32_e32 v0, 0x7f800000, v5
	v_cmp_ne_u64_e32 vcc, s[6:7], v[0:1]
                                        ; implicit-def: $vgpr0
	s_and_saveexec_b64 s[0:1], vcc
	s_xor_b64 s[16:17], exec, s[0:1]
	s_cbranch_execz .LBB35_21
; %bb.4:                                ;   in Loop: Header=BB35_3 Depth=1
	v_and_b32_e32 v0, 0x7fffffff, v5
	v_cmp_gt_u64_e32 vcc, s[12:13], v[0:1]
	v_and_b32_sdwa v12, v5, s9 dst_sel:DWORD dst_unused:UNUSED_PAD src0_sel:BYTE_3 src1_sel:DWORD
                                        ; implicit-def: $vgpr0
	s_and_saveexec_b64 s[0:1], vcc
	s_xor_b64 s[18:19], exec, s[0:1]
	s_cbranch_execz .LBB35_18
; %bb.5:                                ;   in Loop: Header=BB35_3 Depth=1
	v_cmp_ne_u32_e32 vcc, 0, v5
	v_mov_b32_e32 v0, 0
	s_and_saveexec_b64 s[20:21], vcc
	s_cbranch_execz .LBB35_17
; %bb.6:                                ;   in Loop: Header=BB35_3 Depth=1
	v_bfe_u32 v13, v5, 23, 8
	v_and_b32_e32 v0, 0x7fffff, v5
	v_sub_u32_e32 v5, 0x79, v13
	v_cmp_gt_u32_e32 vcc, s27, v13
	v_cndmask_b32_e32 v5, 0, v5, vcc
	v_cmp_eq_u32_e32 vcc, 0, v13
	v_cndmask_b32_e32 v14, v5, v10, vcc
	v_add_u32_e32 v5, 20, v14
	v_or_b32_e32 v7, 0x800000, v0
	v_lshlrev_b64 v[5:6], v5, -1
	v_cndmask_b32_e32 v0, v7, v0, vcc
	v_bfi_b32 v15, v5, 0, v0
	v_add_u32_e32 v5, 19, v14
	v_bfi_b32 v16, v6, 0, 0
	v_lshlrev_b64 v[17:18], v5, 1
	v_lshrrev_b64 v[5:6], v14, v[0:1]
	v_cmp_eq_u64_e64 s[0:1], v[15:16], v[17:18]
	v_mov_b32_e32 v7, v6
	v_mov_b32_e32 v6, v5
	s_and_saveexec_b64 s[22:23], s[0:1]
; %bb.7:                                ;   in Loop: Header=BB35_3 Depth=1
	v_bfe_u32 v0, v5, 20, 1
	v_add_co_u32_e64 v0, s[0:1], v5, v0
	v_add_co_u32_e64 v6, s[0:1], -1, v0
; %bb.8:                                ;   in Loop: Header=BB35_3 Depth=1
	s_or_b64 exec, exec, s[22:23]
	v_add_u32_e32 v0, 0xffffff81, v13
	v_cndmask_b32_e32 v0, v0, v11, vcc
	v_lshrrev_b32_e32 v7, 23, v5
	v_add3_u32 v14, v14, v0, v7
	v_add_u32_e32 v13, 6, v14
	v_and_b32_e32 v0, 0xfffff, v6
	v_add_u32_e32 v0, v0, v5
	v_cmp_ne_u32_e32 vcc, 0, v13
                                        ; implicit-def: $vgpr5_vgpr6
                                        ; implicit-def: $vgpr7
	s_and_saveexec_b64 s[0:1], vcc
	s_xor_b64 s[0:1], exec, s[0:1]
; %bb.9:                                ;   in Loop: Header=BB35_3 Depth=1
	v_cmp_lt_u64_e32 vcc, s[14:15], v[0:1]
	v_add_u32_e32 v5, 7, v14
	v_cndmask_b32_e32 v7, v13, v5, vcc
	v_cndmask_b32_e64 v5, 0, 1, vcc
	v_lshrrev_b64 v[5:6], v5, v[0:1]
; %bb.10:                               ;   in Loop: Header=BB35_3 Depth=1
	s_andn2_saveexec_b64 s[0:1], s[0:1]
; %bb.11:                               ;   in Loop: Header=BB35_3 Depth=1
	v_mov_b32_e32 v6, v1
	v_bfe_u32 v7, v0, 23, 1
	v_mov_b32_e32 v5, v0
; %bb.12:                               ;   in Loop: Header=BB35_3 Depth=1
	s_or_b64 exec, exec, s[0:1]
	v_lshrrev_b64 v[5:6], 20, v[5:6]
	v_cmp_gt_i32_e32 vcc, 16, v7
	v_cndmask_b32_e32 v6, 0, v6, vcc
	v_cndmask_b32_e32 v5, 7, v5, vcc
	v_cmp_ne_u64_e32 vcc, 0, v[5:6]
	v_cmp_ne_u32_e64 s[0:1], 0, v7
	s_or_b64 s[0:1], s[0:1], vcc
                                        ; implicit-def: $vgpr0
	s_and_saveexec_b64 s[22:23], s[0:1]
	s_xor_b64 s[0:1], exec, s[22:23]
; %bb.13:                               ;   in Loop: Header=BB35_3 Depth=1
	v_min_i32_e32 v0, 15, v7
	v_lshl_or_b32 v0, v0, 3, v12
	v_and_or_b32 v0, v5, 7, v0
                                        ; implicit-def: $vgpr12
; %bb.14:                               ;   in Loop: Header=BB35_3 Depth=1
	s_andn2_saveexec_b64 s[0:1], s[0:1]
; %bb.15:                               ;   in Loop: Header=BB35_3 Depth=1
	v_mov_b32_e32 v0, v12
; %bb.16:                               ;   in Loop: Header=BB35_3 Depth=1
	s_or_b64 exec, exec, s[0:1]
.LBB35_17:                              ;   in Loop: Header=BB35_3 Depth=1
	s_or_b64 exec, exec, s[20:21]
                                        ; implicit-def: $vgpr12
.LBB35_18:                              ;   in Loop: Header=BB35_3 Depth=1
	s_andn2_saveexec_b64 s[0:1], s[18:19]
; %bb.19:                               ;   in Loop: Header=BB35_3 Depth=1
	v_or_b32_e32 v0, 0x7e, v12
; %bb.20:                               ;   in Loop: Header=BB35_3 Depth=1
	s_or_b64 exec, exec, s[0:1]
                                        ; implicit-def: $vgpr5
.LBB35_21:                              ;   in Loop: Header=BB35_3 Depth=1
	s_andn2_saveexec_b64 s[0:1], s[16:17]
	s_cbranch_execz .LBB35_2
; %bb.22:                               ;   in Loop: Header=BB35_3 Depth=1
	v_or_b32_sdwa v0, v5, s28 dst_sel:DWORD dst_unused:UNUSED_PAD src0_sel:BYTE_3 src1_sel:DWORD
	s_branch .LBB35_2
.LBB35_23:
	s_endpgm
	.section	.rodata,"a",@progbits
	.p2align	6, 0x0
	.amdhsa_kernel _ZN4vllm18convert_fp8_kernelIhtLNS_18Fp8KVCacheDataTypeE1EEEvPKT0_PT_fl
		.amdhsa_group_segment_fixed_size 0
		.amdhsa_private_segment_fixed_size 0
		.amdhsa_kernarg_size 288
		.amdhsa_user_sgpr_count 6
		.amdhsa_user_sgpr_private_segment_buffer 1
		.amdhsa_user_sgpr_dispatch_ptr 0
		.amdhsa_user_sgpr_queue_ptr 0
		.amdhsa_user_sgpr_kernarg_segment_ptr 1
		.amdhsa_user_sgpr_dispatch_id 0
		.amdhsa_user_sgpr_flat_scratch_init 0
		.amdhsa_user_sgpr_private_segment_size 0
		.amdhsa_uses_dynamic_stack 0
		.amdhsa_system_sgpr_private_segment_wavefront_offset 0
		.amdhsa_system_sgpr_workgroup_id_x 1
		.amdhsa_system_sgpr_workgroup_id_y 0
		.amdhsa_system_sgpr_workgroup_id_z 0
		.amdhsa_system_sgpr_workgroup_info 0
		.amdhsa_system_vgpr_workitem_id 0
		.amdhsa_next_free_vgpr 19
		.amdhsa_next_free_sgpr 29
		.amdhsa_reserve_vcc 1
		.amdhsa_reserve_flat_scratch 0
		.amdhsa_float_round_mode_32 0
		.amdhsa_float_round_mode_16_64 0
		.amdhsa_float_denorm_mode_32 3
		.amdhsa_float_denorm_mode_16_64 3
		.amdhsa_dx10_clamp 1
		.amdhsa_ieee_mode 1
		.amdhsa_fp16_overflow 0
		.amdhsa_exception_fp_ieee_invalid_op 0
		.amdhsa_exception_fp_denorm_src 0
		.amdhsa_exception_fp_ieee_div_zero 0
		.amdhsa_exception_fp_ieee_overflow 0
		.amdhsa_exception_fp_ieee_underflow 0
		.amdhsa_exception_fp_ieee_inexact 0
		.amdhsa_exception_int_div_zero 0
	.end_amdhsa_kernel
	.section	.text._ZN4vllm18convert_fp8_kernelIhtLNS_18Fp8KVCacheDataTypeE1EEEvPKT0_PT_fl,"axG",@progbits,_ZN4vllm18convert_fp8_kernelIhtLNS_18Fp8KVCacheDataTypeE1EEEvPKT0_PT_fl,comdat
.Lfunc_end35:
	.size	_ZN4vllm18convert_fp8_kernelIhtLNS_18Fp8KVCacheDataTypeE1EEEvPKT0_PT_fl, .Lfunc_end35-_ZN4vllm18convert_fp8_kernelIhtLNS_18Fp8KVCacheDataTypeE1EEEvPKT0_PT_fl
                                        ; -- End function
	.set _ZN4vllm18convert_fp8_kernelIhtLNS_18Fp8KVCacheDataTypeE1EEEvPKT0_PT_fl.num_vgpr, 19
	.set _ZN4vllm18convert_fp8_kernelIhtLNS_18Fp8KVCacheDataTypeE1EEEvPKT0_PT_fl.num_agpr, 0
	.set _ZN4vllm18convert_fp8_kernelIhtLNS_18Fp8KVCacheDataTypeE1EEEvPKT0_PT_fl.numbered_sgpr, 29
	.set _ZN4vllm18convert_fp8_kernelIhtLNS_18Fp8KVCacheDataTypeE1EEEvPKT0_PT_fl.num_named_barrier, 0
	.set _ZN4vllm18convert_fp8_kernelIhtLNS_18Fp8KVCacheDataTypeE1EEEvPKT0_PT_fl.private_seg_size, 0
	.set _ZN4vllm18convert_fp8_kernelIhtLNS_18Fp8KVCacheDataTypeE1EEEvPKT0_PT_fl.uses_vcc, 1
	.set _ZN4vllm18convert_fp8_kernelIhtLNS_18Fp8KVCacheDataTypeE1EEEvPKT0_PT_fl.uses_flat_scratch, 0
	.set _ZN4vllm18convert_fp8_kernelIhtLNS_18Fp8KVCacheDataTypeE1EEEvPKT0_PT_fl.has_dyn_sized_stack, 0
	.set _ZN4vllm18convert_fp8_kernelIhtLNS_18Fp8KVCacheDataTypeE1EEEvPKT0_PT_fl.has_recursion, 0
	.set _ZN4vllm18convert_fp8_kernelIhtLNS_18Fp8KVCacheDataTypeE1EEEvPKT0_PT_fl.has_indirect_call, 0
	.section	.AMDGPU.csdata,"",@progbits
; Kernel info:
; codeLenInByte = 780
; TotalNumSgprs: 33
; NumVgprs: 19
; ScratchSize: 0
; MemoryBound: 0
; FloatMode: 240
; IeeeMode: 1
; LDSByteSize: 0 bytes/workgroup (compile time only)
; SGPRBlocks: 4
; VGPRBlocks: 4
; NumSGPRsForWavesPerEU: 33
; NumVGPRsForWavesPerEU: 19
; Occupancy: 10
; WaveLimiterHint : 0
; COMPUTE_PGM_RSRC2:SCRATCH_EN: 0
; COMPUTE_PGM_RSRC2:USER_SGPR: 6
; COMPUTE_PGM_RSRC2:TRAP_HANDLER: 0
; COMPUTE_PGM_RSRC2:TGID_X_EN: 1
; COMPUTE_PGM_RSRC2:TGID_Y_EN: 0
; COMPUTE_PGM_RSRC2:TGID_Z_EN: 0
; COMPUTE_PGM_RSRC2:TIDIG_COMP_CNT: 0
	.section	.text._ZN4vllm18convert_fp8_kernelIh14__hip_bfloat16LNS_18Fp8KVCacheDataTypeE1EEEvPKT0_PT_fl,"axG",@progbits,_ZN4vllm18convert_fp8_kernelIh14__hip_bfloat16LNS_18Fp8KVCacheDataTypeE1EEEvPKT0_PT_fl,comdat
	.protected	_ZN4vllm18convert_fp8_kernelIh14__hip_bfloat16LNS_18Fp8KVCacheDataTypeE1EEEvPKT0_PT_fl ; -- Begin function _ZN4vllm18convert_fp8_kernelIh14__hip_bfloat16LNS_18Fp8KVCacheDataTypeE1EEEvPKT0_PT_fl
	.globl	_ZN4vllm18convert_fp8_kernelIh14__hip_bfloat16LNS_18Fp8KVCacheDataTypeE1EEEvPKT0_PT_fl
	.p2align	8
	.type	_ZN4vllm18convert_fp8_kernelIh14__hip_bfloat16LNS_18Fp8KVCacheDataTypeE1EEEvPKT0_PT_fl,@function
_ZN4vllm18convert_fp8_kernelIh14__hip_bfloat16LNS_18Fp8KVCacheDataTypeE1EEEvPKT0_PT_fl: ; @_ZN4vllm18convert_fp8_kernelIh14__hip_bfloat16LNS_18Fp8KVCacheDataTypeE1EEEvPKT0_PT_fl
; %bb.0:
	s_load_dwordx2 s[2:3], s[4:5], 0x18
	v_mov_b32_e32 v1, 0
	s_waitcnt lgkmcnt(0)
	v_cmp_gt_i64_e32 vcc, s[2:3], v[0:1]
	s_and_saveexec_b64 s[0:1], vcc
	s_cbranch_execz .LBB36_23
; %bb.1:
	s_load_dwordx4 s[8:11], s[4:5], 0x0
	s_load_dword s24, s[4:5], 0x10
	s_load_dword s0, s[4:5], 0x2c
	s_mul_i32 s1, s3, s6
	s_mul_hi_u32 s4, s2, s6
	s_add_i32 s1, s4, s1
	v_mov_b32_e32 v4, v1
	s_waitcnt lgkmcnt(0)
	s_and_b32 s26, s0, 0xffff
	s_mul_i32 s25, s2, s6
	v_add_u32_e32 v2, s26, v0
	s_mov_b64 s[4:5], 0
	v_mov_b32_e32 v8, s1
	v_mov_b32_e32 v9, s9
	s_mov_b64 s[6:7], 0x7f800000
	s_movk_i32 s9, 0x80
	s_mov_b64 s[12:13], 0x43e00001
	s_movk_i32 s27, 0x7a
	;; [unrolled: 2-line block ×3, first 2 shown]
	v_mov_b32_e32 v10, 0x78
	v_mov_b32_e32 v11, 0xffffff82
	;; [unrolled: 1-line block ×3, first 2 shown]
	s_branch .LBB36_3
.LBB36_2:                               ;   in Loop: Header=BB36_3 Depth=1
	s_or_b64 exec, exec, s[0:1]
	v_mov_b32_e32 v5, s11
	v_add_co_u32_e32 v3, vcc, s10, v3
	v_addc_co_u32_e32 v4, vcc, v5, v4, vcc
	global_store_byte v[3:4], v0, off
	v_ashrrev_i32_e32 v3, 31, v2
	v_cmp_le_i64_e32 vcc, s[2:3], v[2:3]
	v_mov_b32_e32 v4, v3
	v_mov_b32_e32 v3, v2
	s_or_b64 s[4:5], vcc, s[4:5]
	v_add_u32_e32 v2, s26, v2
	s_andn2_b64 exec, exec, s[4:5]
	s_cbranch_execz .LBB36_23
.LBB36_3:                               ; =>This Inner Loop Header: Depth=1
	v_add_co_u32_e32 v3, vcc, s25, v3
	v_addc_co_u32_e32 v4, vcc, v4, v8, vcc
	v_lshlrev_b64 v[5:6], 1, v[3:4]
	v_add_co_u32_e32 v5, vcc, s8, v5
	v_addc_co_u32_e32 v6, vcc, v9, v6, vcc
	global_load_ushort v0, v[5:6], off
	s_waitcnt vmcnt(0)
	v_lshlrev_b32_e32 v0, 16, v0
	v_div_scale_f32 v5, s[0:1], s24, s24, v0
	v_div_scale_f32 v6, vcc, v0, s24, v0
	v_rcp_f32_e32 v7, v5
	v_fma_f32 v12, -v5, v7, 1.0
	v_fmac_f32_e32 v7, v12, v7
	v_mul_f32_e32 v12, v6, v7
	v_fma_f32 v13, -v5, v12, v6
	v_fmac_f32_e32 v12, v13, v7
	v_fma_f32 v5, -v5, v12, v6
	v_div_fmas_f32 v5, v5, v7, v12
	v_div_fixup_f32 v5, v5, s24, v0
	v_and_b32_e32 v0, 0x7f800000, v5
	v_cmp_ne_u64_e32 vcc, s[6:7], v[0:1]
                                        ; implicit-def: $vgpr0
	s_and_saveexec_b64 s[0:1], vcc
	s_xor_b64 s[16:17], exec, s[0:1]
	s_cbranch_execz .LBB36_21
; %bb.4:                                ;   in Loop: Header=BB36_3 Depth=1
	v_and_b32_e32 v0, 0x7fffffff, v5
	v_cmp_gt_u64_e32 vcc, s[12:13], v[0:1]
	v_and_b32_sdwa v12, v5, s9 dst_sel:DWORD dst_unused:UNUSED_PAD src0_sel:BYTE_3 src1_sel:DWORD
                                        ; implicit-def: $vgpr0
	s_and_saveexec_b64 s[0:1], vcc
	s_xor_b64 s[18:19], exec, s[0:1]
	s_cbranch_execz .LBB36_18
; %bb.5:                                ;   in Loop: Header=BB36_3 Depth=1
	v_cmp_ne_u32_e32 vcc, 0, v5
	v_mov_b32_e32 v0, 0
	s_and_saveexec_b64 s[20:21], vcc
	s_cbranch_execz .LBB36_17
; %bb.6:                                ;   in Loop: Header=BB36_3 Depth=1
	v_bfe_u32 v13, v5, 23, 8
	v_and_b32_e32 v0, 0x7fffff, v5
	v_sub_u32_e32 v5, 0x79, v13
	v_cmp_gt_u32_e32 vcc, s27, v13
	v_cndmask_b32_e32 v5, 0, v5, vcc
	v_cmp_eq_u32_e32 vcc, 0, v13
	v_cndmask_b32_e32 v14, v5, v10, vcc
	v_add_u32_e32 v5, 20, v14
	v_or_b32_e32 v7, 0x800000, v0
	v_lshlrev_b64 v[5:6], v5, -1
	v_cndmask_b32_e32 v0, v7, v0, vcc
	v_bfi_b32 v15, v5, 0, v0
	v_add_u32_e32 v5, 19, v14
	v_bfi_b32 v16, v6, 0, 0
	v_lshlrev_b64 v[17:18], v5, 1
	v_lshrrev_b64 v[5:6], v14, v[0:1]
	v_cmp_eq_u64_e64 s[0:1], v[15:16], v[17:18]
	v_mov_b32_e32 v7, v6
	v_mov_b32_e32 v6, v5
	s_and_saveexec_b64 s[22:23], s[0:1]
; %bb.7:                                ;   in Loop: Header=BB36_3 Depth=1
	v_bfe_u32 v0, v5, 20, 1
	v_add_co_u32_e64 v0, s[0:1], v5, v0
	v_add_co_u32_e64 v6, s[0:1], -1, v0
; %bb.8:                                ;   in Loop: Header=BB36_3 Depth=1
	s_or_b64 exec, exec, s[22:23]
	v_add_u32_e32 v0, 0xffffff81, v13
	v_cndmask_b32_e32 v0, v0, v11, vcc
	v_lshrrev_b32_e32 v7, 23, v5
	v_add3_u32 v14, v14, v0, v7
	v_add_u32_e32 v13, 6, v14
	v_and_b32_e32 v0, 0xfffff, v6
	v_add_u32_e32 v0, v0, v5
	v_cmp_ne_u32_e32 vcc, 0, v13
                                        ; implicit-def: $vgpr5_vgpr6
                                        ; implicit-def: $vgpr7
	s_and_saveexec_b64 s[0:1], vcc
	s_xor_b64 s[0:1], exec, s[0:1]
; %bb.9:                                ;   in Loop: Header=BB36_3 Depth=1
	v_cmp_lt_u64_e32 vcc, s[14:15], v[0:1]
	v_add_u32_e32 v5, 7, v14
	v_cndmask_b32_e32 v7, v13, v5, vcc
	v_cndmask_b32_e64 v5, 0, 1, vcc
	v_lshrrev_b64 v[5:6], v5, v[0:1]
; %bb.10:                               ;   in Loop: Header=BB36_3 Depth=1
	s_andn2_saveexec_b64 s[0:1], s[0:1]
; %bb.11:                               ;   in Loop: Header=BB36_3 Depth=1
	v_mov_b32_e32 v6, v1
	v_bfe_u32 v7, v0, 23, 1
	v_mov_b32_e32 v5, v0
; %bb.12:                               ;   in Loop: Header=BB36_3 Depth=1
	s_or_b64 exec, exec, s[0:1]
	v_lshrrev_b64 v[5:6], 20, v[5:6]
	v_cmp_gt_i32_e32 vcc, 16, v7
	v_cndmask_b32_e32 v6, 0, v6, vcc
	v_cndmask_b32_e32 v5, 7, v5, vcc
	v_cmp_ne_u64_e32 vcc, 0, v[5:6]
	v_cmp_ne_u32_e64 s[0:1], 0, v7
	s_or_b64 s[0:1], s[0:1], vcc
                                        ; implicit-def: $vgpr0
	s_and_saveexec_b64 s[22:23], s[0:1]
	s_xor_b64 s[0:1], exec, s[22:23]
; %bb.13:                               ;   in Loop: Header=BB36_3 Depth=1
	v_min_i32_e32 v0, 15, v7
	v_lshl_or_b32 v0, v0, 3, v12
	v_and_or_b32 v0, v5, 7, v0
                                        ; implicit-def: $vgpr12
; %bb.14:                               ;   in Loop: Header=BB36_3 Depth=1
	s_andn2_saveexec_b64 s[0:1], s[0:1]
; %bb.15:                               ;   in Loop: Header=BB36_3 Depth=1
	v_mov_b32_e32 v0, v12
; %bb.16:                               ;   in Loop: Header=BB36_3 Depth=1
	s_or_b64 exec, exec, s[0:1]
.LBB36_17:                              ;   in Loop: Header=BB36_3 Depth=1
	s_or_b64 exec, exec, s[20:21]
                                        ; implicit-def: $vgpr12
.LBB36_18:                              ;   in Loop: Header=BB36_3 Depth=1
	s_andn2_saveexec_b64 s[0:1], s[18:19]
; %bb.19:                               ;   in Loop: Header=BB36_3 Depth=1
	v_or_b32_e32 v0, 0x7e, v12
; %bb.20:                               ;   in Loop: Header=BB36_3 Depth=1
	s_or_b64 exec, exec, s[0:1]
                                        ; implicit-def: $vgpr5
.LBB36_21:                              ;   in Loop: Header=BB36_3 Depth=1
	s_andn2_saveexec_b64 s[0:1], s[16:17]
	s_cbranch_execz .LBB36_2
; %bb.22:                               ;   in Loop: Header=BB36_3 Depth=1
	v_or_b32_sdwa v0, v5, s28 dst_sel:DWORD dst_unused:UNUSED_PAD src0_sel:BYTE_3 src1_sel:DWORD
	s_branch .LBB36_2
.LBB36_23:
	s_endpgm
	.section	.rodata,"a",@progbits
	.p2align	6, 0x0
	.amdhsa_kernel _ZN4vllm18convert_fp8_kernelIh14__hip_bfloat16LNS_18Fp8KVCacheDataTypeE1EEEvPKT0_PT_fl
		.amdhsa_group_segment_fixed_size 0
		.amdhsa_private_segment_fixed_size 0
		.amdhsa_kernarg_size 288
		.amdhsa_user_sgpr_count 6
		.amdhsa_user_sgpr_private_segment_buffer 1
		.amdhsa_user_sgpr_dispatch_ptr 0
		.amdhsa_user_sgpr_queue_ptr 0
		.amdhsa_user_sgpr_kernarg_segment_ptr 1
		.amdhsa_user_sgpr_dispatch_id 0
		.amdhsa_user_sgpr_flat_scratch_init 0
		.amdhsa_user_sgpr_private_segment_size 0
		.amdhsa_uses_dynamic_stack 0
		.amdhsa_system_sgpr_private_segment_wavefront_offset 0
		.amdhsa_system_sgpr_workgroup_id_x 1
		.amdhsa_system_sgpr_workgroup_id_y 0
		.amdhsa_system_sgpr_workgroup_id_z 0
		.amdhsa_system_sgpr_workgroup_info 0
		.amdhsa_system_vgpr_workitem_id 0
		.amdhsa_next_free_vgpr 19
		.amdhsa_next_free_sgpr 29
		.amdhsa_reserve_vcc 1
		.amdhsa_reserve_flat_scratch 0
		.amdhsa_float_round_mode_32 0
		.amdhsa_float_round_mode_16_64 0
		.amdhsa_float_denorm_mode_32 3
		.amdhsa_float_denorm_mode_16_64 3
		.amdhsa_dx10_clamp 1
		.amdhsa_ieee_mode 1
		.amdhsa_fp16_overflow 0
		.amdhsa_exception_fp_ieee_invalid_op 0
		.amdhsa_exception_fp_denorm_src 0
		.amdhsa_exception_fp_ieee_div_zero 0
		.amdhsa_exception_fp_ieee_overflow 0
		.amdhsa_exception_fp_ieee_underflow 0
		.amdhsa_exception_fp_ieee_inexact 0
		.amdhsa_exception_int_div_zero 0
	.end_amdhsa_kernel
	.section	.text._ZN4vllm18convert_fp8_kernelIh14__hip_bfloat16LNS_18Fp8KVCacheDataTypeE1EEEvPKT0_PT_fl,"axG",@progbits,_ZN4vllm18convert_fp8_kernelIh14__hip_bfloat16LNS_18Fp8KVCacheDataTypeE1EEEvPKT0_PT_fl,comdat
.Lfunc_end36:
	.size	_ZN4vllm18convert_fp8_kernelIh14__hip_bfloat16LNS_18Fp8KVCacheDataTypeE1EEEvPKT0_PT_fl, .Lfunc_end36-_ZN4vllm18convert_fp8_kernelIh14__hip_bfloat16LNS_18Fp8KVCacheDataTypeE1EEEvPKT0_PT_fl
                                        ; -- End function
	.set _ZN4vllm18convert_fp8_kernelIh14__hip_bfloat16LNS_18Fp8KVCacheDataTypeE1EEEvPKT0_PT_fl.num_vgpr, 19
	.set _ZN4vllm18convert_fp8_kernelIh14__hip_bfloat16LNS_18Fp8KVCacheDataTypeE1EEEvPKT0_PT_fl.num_agpr, 0
	.set _ZN4vllm18convert_fp8_kernelIh14__hip_bfloat16LNS_18Fp8KVCacheDataTypeE1EEEvPKT0_PT_fl.numbered_sgpr, 29
	.set _ZN4vllm18convert_fp8_kernelIh14__hip_bfloat16LNS_18Fp8KVCacheDataTypeE1EEEvPKT0_PT_fl.num_named_barrier, 0
	.set _ZN4vllm18convert_fp8_kernelIh14__hip_bfloat16LNS_18Fp8KVCacheDataTypeE1EEEvPKT0_PT_fl.private_seg_size, 0
	.set _ZN4vllm18convert_fp8_kernelIh14__hip_bfloat16LNS_18Fp8KVCacheDataTypeE1EEEvPKT0_PT_fl.uses_vcc, 1
	.set _ZN4vllm18convert_fp8_kernelIh14__hip_bfloat16LNS_18Fp8KVCacheDataTypeE1EEEvPKT0_PT_fl.uses_flat_scratch, 0
	.set _ZN4vllm18convert_fp8_kernelIh14__hip_bfloat16LNS_18Fp8KVCacheDataTypeE1EEEvPKT0_PT_fl.has_dyn_sized_stack, 0
	.set _ZN4vllm18convert_fp8_kernelIh14__hip_bfloat16LNS_18Fp8KVCacheDataTypeE1EEEvPKT0_PT_fl.has_recursion, 0
	.set _ZN4vllm18convert_fp8_kernelIh14__hip_bfloat16LNS_18Fp8KVCacheDataTypeE1EEEvPKT0_PT_fl.has_indirect_call, 0
	.section	.AMDGPU.csdata,"",@progbits
; Kernel info:
; codeLenInByte = 772
; TotalNumSgprs: 33
; NumVgprs: 19
; ScratchSize: 0
; MemoryBound: 0
; FloatMode: 240
; IeeeMode: 1
; LDSByteSize: 0 bytes/workgroup (compile time only)
; SGPRBlocks: 4
; VGPRBlocks: 4
; NumSGPRsForWavesPerEU: 33
; NumVGPRsForWavesPerEU: 19
; Occupancy: 10
; WaveLimiterHint : 0
; COMPUTE_PGM_RSRC2:SCRATCH_EN: 0
; COMPUTE_PGM_RSRC2:USER_SGPR: 6
; COMPUTE_PGM_RSRC2:TRAP_HANDLER: 0
; COMPUTE_PGM_RSRC2:TGID_X_EN: 1
; COMPUTE_PGM_RSRC2:TGID_Y_EN: 0
; COMPUTE_PGM_RSRC2:TGID_Z_EN: 0
; COMPUTE_PGM_RSRC2:TIDIG_COMP_CNT: 0
	.section	.text._ZN4vllm18convert_fp8_kernelIfhLNS_18Fp8KVCacheDataTypeE1EEEvPKT0_PT_fl,"axG",@progbits,_ZN4vllm18convert_fp8_kernelIfhLNS_18Fp8KVCacheDataTypeE1EEEvPKT0_PT_fl,comdat
	.protected	_ZN4vllm18convert_fp8_kernelIfhLNS_18Fp8KVCacheDataTypeE1EEEvPKT0_PT_fl ; -- Begin function _ZN4vllm18convert_fp8_kernelIfhLNS_18Fp8KVCacheDataTypeE1EEEvPKT0_PT_fl
	.globl	_ZN4vllm18convert_fp8_kernelIfhLNS_18Fp8KVCacheDataTypeE1EEEvPKT0_PT_fl
	.p2align	8
	.type	_ZN4vllm18convert_fp8_kernelIfhLNS_18Fp8KVCacheDataTypeE1EEEvPKT0_PT_fl,@function
_ZN4vllm18convert_fp8_kernelIfhLNS_18Fp8KVCacheDataTypeE1EEEvPKT0_PT_fl: ; @_ZN4vllm18convert_fp8_kernelIfhLNS_18Fp8KVCacheDataTypeE1EEEvPKT0_PT_fl
; %bb.0:
	s_load_dwordx2 s[8:9], s[4:5], 0x18
	v_mov_b32_e32 v1, 0
	s_waitcnt lgkmcnt(0)
	v_cmp_gt_i64_e32 vcc, s[8:9], v[0:1]
	s_and_saveexec_b64 s[0:1], vcc
	s_cbranch_execz .LBB37_9
; %bb.1:
	s_load_dwordx4 s[0:3], s[4:5], 0x0
	s_load_dword s14, s[4:5], 0x10
	s_load_dword s7, s[4:5], 0x2c
	s_mul_i32 s4, s9, s6
	s_mul_hi_u32 s5, s8, s6
	s_add_i32 s10, s5, s4
	s_mul_i32 s15, s8, s6
	s_waitcnt lgkmcnt(0)
	s_and_b32 s16, s7, 0xffff
	v_add_u32_e32 v2, s16, v0
	s_mov_b64 s[4:5], 0
	v_mov_b32_e32 v4, s10
	v_mov_b32_e32 v5, s1
	s_movk_i32 s1, 0x80
	s_movk_i32 s17, 0x7f
	v_mov_b32_e32 v6, s3
	v_bfrev_b32_e32 v7, 60
	s_branch .LBB37_5
.LBB37_2:                               ;   in Loop: Header=BB37_5 Depth=1
	s_or_b64 exec, exec, s[12:13]
.LBB37_3:                               ;   in Loop: Header=BB37_5 Depth=1
	s_or_b64 exec, exec, s[10:11]
.LBB37_4:                               ;   in Loop: Header=BB37_5 Depth=1
	s_or_b64 exec, exec, s[6:7]
	v_lshlrev_b64 v[0:1], 2, v[0:1]
	v_mul_f32_e32 v3, s14, v9
	v_add_co_u32_e32 v0, vcc, s2, v0
	v_addc_co_u32_e32 v1, vcc, v6, v1, vcc
	global_store_dword v[0:1], v3, off
	v_ashrrev_i32_e32 v3, 31, v2
	v_cmp_le_i64_e32 vcc, s[8:9], v[2:3]
	v_mov_b32_e32 v0, v2
	v_mov_b32_e32 v1, v3
	s_or_b64 s[4:5], vcc, s[4:5]
	v_add_u32_e32 v2, s16, v2
	s_andn2_b64 exec, exec, s[4:5]
	s_cbranch_execz .LBB37_9
.LBB37_5:                               ; =>This Inner Loop Header: Depth=1
	v_add_co_u32_e32 v0, vcc, s15, v0
	v_addc_co_u32_e32 v1, vcc, v1, v4, vcc
	v_add_co_u32_e32 v8, vcc, s0, v0
	v_addc_co_u32_e32 v9, vcc, v5, v1, vcc
	global_load_ubyte v8, v[8:9], off
	v_mov_b32_e32 v9, 0
	s_waitcnt vmcnt(0)
	v_cmp_ne_u16_e32 vcc, 0, v8
	s_and_saveexec_b64 s[6:7], vcc
	s_cbranch_execz .LBB37_4
; %bb.6:                                ;   in Loop: Header=BB37_5 Depth=1
	v_cmp_ne_u16_e32 vcc, s1, v8
	v_bfrev_b32_e32 v9, 1
	s_and_saveexec_b64 s[10:11], vcc
	s_cbranch_execz .LBB37_3
; %bb.7:                                ;   in Loop: Header=BB37_5 Depth=1
	v_and_b32_e32 v3, 0xffff, v8
	v_and_b32_e32 v10, 0x7f, v3
	v_cmp_ne_u32_e32 vcc, s17, v10
	v_mov_b32_e32 v9, 0x7f800001
	s_and_saveexec_b64 s[12:13], vcc
	s_cbranch_execz .LBB37_2
; %bb.8:                                ;   in Loop: Header=BB37_5 Depth=1
	v_and_b32_e32 v9, 7, v3
	v_ffbh_u32_e32 v11, v9
	v_min_u32_e32 v14, 32, v11
	v_subrev_u32_e32 v11, 28, v14
	v_lshlrev_b64 v[11:12], v11, v[3:4]
	v_lshrrev_b32_e32 v13, 3, v10
	v_sub_u32_e32 v3, 29, v14
	v_and_b32_e32 v11, 7, v11
	v_cmp_gt_u32_e32 vcc, 8, v10
	v_cndmask_b32_e32 v3, v13, v3, vcc
	v_cndmask_b32_e32 v9, v9, v11, vcc
	v_lshlrev_b32_e32 v8, 24, v8
	v_lshlrev_b32_e32 v9, 20, v9
	v_and_b32_e32 v8, 0x80000000, v8
	v_lshl_add_u32 v3, v3, 23, v7
	v_or3_b32 v9, v8, v3, v9
	s_branch .LBB37_2
.LBB37_9:
	s_endpgm
	.section	.rodata,"a",@progbits
	.p2align	6, 0x0
	.amdhsa_kernel _ZN4vllm18convert_fp8_kernelIfhLNS_18Fp8KVCacheDataTypeE1EEEvPKT0_PT_fl
		.amdhsa_group_segment_fixed_size 0
		.amdhsa_private_segment_fixed_size 0
		.amdhsa_kernarg_size 288
		.amdhsa_user_sgpr_count 6
		.amdhsa_user_sgpr_private_segment_buffer 1
		.amdhsa_user_sgpr_dispatch_ptr 0
		.amdhsa_user_sgpr_queue_ptr 0
		.amdhsa_user_sgpr_kernarg_segment_ptr 1
		.amdhsa_user_sgpr_dispatch_id 0
		.amdhsa_user_sgpr_flat_scratch_init 0
		.amdhsa_user_sgpr_private_segment_size 0
		.amdhsa_uses_dynamic_stack 0
		.amdhsa_system_sgpr_private_segment_wavefront_offset 0
		.amdhsa_system_sgpr_workgroup_id_x 1
		.amdhsa_system_sgpr_workgroup_id_y 0
		.amdhsa_system_sgpr_workgroup_id_z 0
		.amdhsa_system_sgpr_workgroup_info 0
		.amdhsa_system_vgpr_workitem_id 0
		.amdhsa_next_free_vgpr 15
		.amdhsa_next_free_sgpr 18
		.amdhsa_reserve_vcc 1
		.amdhsa_reserve_flat_scratch 0
		.amdhsa_float_round_mode_32 0
		.amdhsa_float_round_mode_16_64 0
		.amdhsa_float_denorm_mode_32 3
		.amdhsa_float_denorm_mode_16_64 3
		.amdhsa_dx10_clamp 1
		.amdhsa_ieee_mode 1
		.amdhsa_fp16_overflow 0
		.amdhsa_exception_fp_ieee_invalid_op 0
		.amdhsa_exception_fp_denorm_src 0
		.amdhsa_exception_fp_ieee_div_zero 0
		.amdhsa_exception_fp_ieee_overflow 0
		.amdhsa_exception_fp_ieee_underflow 0
		.amdhsa_exception_fp_ieee_inexact 0
		.amdhsa_exception_int_div_zero 0
	.end_amdhsa_kernel
	.section	.text._ZN4vllm18convert_fp8_kernelIfhLNS_18Fp8KVCacheDataTypeE1EEEvPKT0_PT_fl,"axG",@progbits,_ZN4vllm18convert_fp8_kernelIfhLNS_18Fp8KVCacheDataTypeE1EEEvPKT0_PT_fl,comdat
.Lfunc_end37:
	.size	_ZN4vllm18convert_fp8_kernelIfhLNS_18Fp8KVCacheDataTypeE1EEEvPKT0_PT_fl, .Lfunc_end37-_ZN4vllm18convert_fp8_kernelIfhLNS_18Fp8KVCacheDataTypeE1EEEvPKT0_PT_fl
                                        ; -- End function
	.set _ZN4vllm18convert_fp8_kernelIfhLNS_18Fp8KVCacheDataTypeE1EEEvPKT0_PT_fl.num_vgpr, 15
	.set _ZN4vllm18convert_fp8_kernelIfhLNS_18Fp8KVCacheDataTypeE1EEEvPKT0_PT_fl.num_agpr, 0
	.set _ZN4vllm18convert_fp8_kernelIfhLNS_18Fp8KVCacheDataTypeE1EEEvPKT0_PT_fl.numbered_sgpr, 18
	.set _ZN4vllm18convert_fp8_kernelIfhLNS_18Fp8KVCacheDataTypeE1EEEvPKT0_PT_fl.num_named_barrier, 0
	.set _ZN4vllm18convert_fp8_kernelIfhLNS_18Fp8KVCacheDataTypeE1EEEvPKT0_PT_fl.private_seg_size, 0
	.set _ZN4vllm18convert_fp8_kernelIfhLNS_18Fp8KVCacheDataTypeE1EEEvPKT0_PT_fl.uses_vcc, 1
	.set _ZN4vllm18convert_fp8_kernelIfhLNS_18Fp8KVCacheDataTypeE1EEEvPKT0_PT_fl.uses_flat_scratch, 0
	.set _ZN4vllm18convert_fp8_kernelIfhLNS_18Fp8KVCacheDataTypeE1EEEvPKT0_PT_fl.has_dyn_sized_stack, 0
	.set _ZN4vllm18convert_fp8_kernelIfhLNS_18Fp8KVCacheDataTypeE1EEEvPKT0_PT_fl.has_recursion, 0
	.set _ZN4vllm18convert_fp8_kernelIfhLNS_18Fp8KVCacheDataTypeE1EEEvPKT0_PT_fl.has_indirect_call, 0
	.section	.AMDGPU.csdata,"",@progbits
; Kernel info:
; codeLenInByte = 372
; TotalNumSgprs: 22
; NumVgprs: 15
; ScratchSize: 0
; MemoryBound: 0
; FloatMode: 240
; IeeeMode: 1
; LDSByteSize: 0 bytes/workgroup (compile time only)
; SGPRBlocks: 2
; VGPRBlocks: 3
; NumSGPRsForWavesPerEU: 22
; NumVGPRsForWavesPerEU: 15
; Occupancy: 10
; WaveLimiterHint : 0
; COMPUTE_PGM_RSRC2:SCRATCH_EN: 0
; COMPUTE_PGM_RSRC2:USER_SGPR: 6
; COMPUTE_PGM_RSRC2:TRAP_HANDLER: 0
; COMPUTE_PGM_RSRC2:TGID_X_EN: 1
; COMPUTE_PGM_RSRC2:TGID_Y_EN: 0
; COMPUTE_PGM_RSRC2:TGID_Z_EN: 0
; COMPUTE_PGM_RSRC2:TIDIG_COMP_CNT: 0
	.section	.text._ZN4vllm18convert_fp8_kernelIthLNS_18Fp8KVCacheDataTypeE1EEEvPKT0_PT_fl,"axG",@progbits,_ZN4vllm18convert_fp8_kernelIthLNS_18Fp8KVCacheDataTypeE1EEEvPKT0_PT_fl,comdat
	.protected	_ZN4vllm18convert_fp8_kernelIthLNS_18Fp8KVCacheDataTypeE1EEEvPKT0_PT_fl ; -- Begin function _ZN4vllm18convert_fp8_kernelIthLNS_18Fp8KVCacheDataTypeE1EEEvPKT0_PT_fl
	.globl	_ZN4vllm18convert_fp8_kernelIthLNS_18Fp8KVCacheDataTypeE1EEEvPKT0_PT_fl
	.p2align	8
	.type	_ZN4vllm18convert_fp8_kernelIthLNS_18Fp8KVCacheDataTypeE1EEEvPKT0_PT_fl,@function
_ZN4vllm18convert_fp8_kernelIthLNS_18Fp8KVCacheDataTypeE1EEEvPKT0_PT_fl: ; @_ZN4vllm18convert_fp8_kernelIthLNS_18Fp8KVCacheDataTypeE1EEEvPKT0_PT_fl
; %bb.0:
	s_load_dwordx2 s[8:9], s[4:5], 0x18
	v_mov_b32_e32 v1, 0
	s_waitcnt lgkmcnt(0)
	v_cmp_gt_i64_e32 vcc, s[8:9], v[0:1]
	s_and_saveexec_b64 s[0:1], vcc
	s_cbranch_execz .LBB38_9
; %bb.1:
	s_load_dwordx4 s[0:3], s[4:5], 0x0
	s_load_dword s14, s[4:5], 0x10
	s_load_dword s7, s[4:5], 0x2c
	s_mul_i32 s4, s9, s6
	s_mul_hi_u32 s5, s8, s6
	s_add_i32 s10, s5, s4
	s_mul_i32 s15, s8, s6
	s_waitcnt lgkmcnt(0)
	s_and_b32 s16, s7, 0xffff
	v_add_u32_e32 v2, s16, v0
	s_mov_b64 s[4:5], 0
	v_mov_b32_e32 v4, s10
	v_mov_b32_e32 v5, s1
	s_movk_i32 s1, 0x80
	s_movk_i32 s17, 0x7f
	v_mov_b32_e32 v6, s3
	v_bfrev_b32_e32 v7, 60
	s_branch .LBB38_5
.LBB38_2:                               ;   in Loop: Header=BB38_5 Depth=1
	s_or_b64 exec, exec, s[12:13]
.LBB38_3:                               ;   in Loop: Header=BB38_5 Depth=1
	s_or_b64 exec, exec, s[10:11]
.LBB38_4:                               ;   in Loop: Header=BB38_5 Depth=1
	s_or_b64 exec, exec, s[6:7]
	v_lshlrev_b64 v[0:1], 1, v[0:1]
	v_fma_mixlo_f16 v3, s14, v9, 0
	v_add_co_u32_e32 v0, vcc, s2, v0
	v_addc_co_u32_e32 v1, vcc, v6, v1, vcc
	global_store_short v[0:1], v3, off
	v_ashrrev_i32_e32 v3, 31, v2
	v_cmp_le_i64_e32 vcc, s[8:9], v[2:3]
	v_mov_b32_e32 v0, v2
	v_mov_b32_e32 v1, v3
	s_or_b64 s[4:5], vcc, s[4:5]
	v_add_u32_e32 v2, s16, v2
	s_andn2_b64 exec, exec, s[4:5]
	s_cbranch_execz .LBB38_9
.LBB38_5:                               ; =>This Inner Loop Header: Depth=1
	v_add_co_u32_e32 v0, vcc, s15, v0
	v_addc_co_u32_e32 v1, vcc, v1, v4, vcc
	v_add_co_u32_e32 v8, vcc, s0, v0
	v_addc_co_u32_e32 v9, vcc, v5, v1, vcc
	global_load_ubyte v8, v[8:9], off
	v_mov_b32_e32 v9, 0
	s_waitcnt vmcnt(0)
	v_cmp_ne_u16_e32 vcc, 0, v8
	s_and_saveexec_b64 s[6:7], vcc
	s_cbranch_execz .LBB38_4
; %bb.6:                                ;   in Loop: Header=BB38_5 Depth=1
	v_cmp_ne_u16_e32 vcc, s1, v8
	v_bfrev_b32_e32 v9, 1
	s_and_saveexec_b64 s[10:11], vcc
	s_cbranch_execz .LBB38_3
; %bb.7:                                ;   in Loop: Header=BB38_5 Depth=1
	v_and_b32_e32 v3, 0xffff, v8
	v_and_b32_e32 v10, 0x7f, v3
	v_cmp_ne_u32_e32 vcc, s17, v10
	v_mov_b32_e32 v9, 0x7f800001
	s_and_saveexec_b64 s[12:13], vcc
	s_cbranch_execz .LBB38_2
; %bb.8:                                ;   in Loop: Header=BB38_5 Depth=1
	v_and_b32_e32 v9, 7, v3
	v_ffbh_u32_e32 v11, v9
	v_min_u32_e32 v14, 32, v11
	v_subrev_u32_e32 v11, 28, v14
	v_lshlrev_b64 v[11:12], v11, v[3:4]
	v_lshrrev_b32_e32 v13, 3, v10
	v_sub_u32_e32 v3, 29, v14
	v_and_b32_e32 v11, 7, v11
	v_cmp_gt_u32_e32 vcc, 8, v10
	v_cndmask_b32_e32 v3, v13, v3, vcc
	v_cndmask_b32_e32 v9, v9, v11, vcc
	v_lshlrev_b32_e32 v8, 24, v8
	v_lshlrev_b32_e32 v9, 20, v9
	v_and_b32_e32 v8, 0x80000000, v8
	v_lshl_add_u32 v3, v3, 23, v7
	v_or3_b32 v9, v8, v3, v9
	s_branch .LBB38_2
.LBB38_9:
	s_endpgm
	.section	.rodata,"a",@progbits
	.p2align	6, 0x0
	.amdhsa_kernel _ZN4vllm18convert_fp8_kernelIthLNS_18Fp8KVCacheDataTypeE1EEEvPKT0_PT_fl
		.amdhsa_group_segment_fixed_size 0
		.amdhsa_private_segment_fixed_size 0
		.amdhsa_kernarg_size 288
		.amdhsa_user_sgpr_count 6
		.amdhsa_user_sgpr_private_segment_buffer 1
		.amdhsa_user_sgpr_dispatch_ptr 0
		.amdhsa_user_sgpr_queue_ptr 0
		.amdhsa_user_sgpr_kernarg_segment_ptr 1
		.amdhsa_user_sgpr_dispatch_id 0
		.amdhsa_user_sgpr_flat_scratch_init 0
		.amdhsa_user_sgpr_private_segment_size 0
		.amdhsa_uses_dynamic_stack 0
		.amdhsa_system_sgpr_private_segment_wavefront_offset 0
		.amdhsa_system_sgpr_workgroup_id_x 1
		.amdhsa_system_sgpr_workgroup_id_y 0
		.amdhsa_system_sgpr_workgroup_id_z 0
		.amdhsa_system_sgpr_workgroup_info 0
		.amdhsa_system_vgpr_workitem_id 0
		.amdhsa_next_free_vgpr 15
		.amdhsa_next_free_sgpr 18
		.amdhsa_reserve_vcc 1
		.amdhsa_reserve_flat_scratch 0
		.amdhsa_float_round_mode_32 0
		.amdhsa_float_round_mode_16_64 0
		.amdhsa_float_denorm_mode_32 3
		.amdhsa_float_denorm_mode_16_64 3
		.amdhsa_dx10_clamp 1
		.amdhsa_ieee_mode 1
		.amdhsa_fp16_overflow 0
		.amdhsa_exception_fp_ieee_invalid_op 0
		.amdhsa_exception_fp_denorm_src 0
		.amdhsa_exception_fp_ieee_div_zero 0
		.amdhsa_exception_fp_ieee_overflow 0
		.amdhsa_exception_fp_ieee_underflow 0
		.amdhsa_exception_fp_ieee_inexact 0
		.amdhsa_exception_int_div_zero 0
	.end_amdhsa_kernel
	.section	.text._ZN4vllm18convert_fp8_kernelIthLNS_18Fp8KVCacheDataTypeE1EEEvPKT0_PT_fl,"axG",@progbits,_ZN4vllm18convert_fp8_kernelIthLNS_18Fp8KVCacheDataTypeE1EEEvPKT0_PT_fl,comdat
.Lfunc_end38:
	.size	_ZN4vllm18convert_fp8_kernelIthLNS_18Fp8KVCacheDataTypeE1EEEvPKT0_PT_fl, .Lfunc_end38-_ZN4vllm18convert_fp8_kernelIthLNS_18Fp8KVCacheDataTypeE1EEEvPKT0_PT_fl
                                        ; -- End function
	.set _ZN4vllm18convert_fp8_kernelIthLNS_18Fp8KVCacheDataTypeE1EEEvPKT0_PT_fl.num_vgpr, 15
	.set _ZN4vllm18convert_fp8_kernelIthLNS_18Fp8KVCacheDataTypeE1EEEvPKT0_PT_fl.num_agpr, 0
	.set _ZN4vllm18convert_fp8_kernelIthLNS_18Fp8KVCacheDataTypeE1EEEvPKT0_PT_fl.numbered_sgpr, 18
	.set _ZN4vllm18convert_fp8_kernelIthLNS_18Fp8KVCacheDataTypeE1EEEvPKT0_PT_fl.num_named_barrier, 0
	.set _ZN4vllm18convert_fp8_kernelIthLNS_18Fp8KVCacheDataTypeE1EEEvPKT0_PT_fl.private_seg_size, 0
	.set _ZN4vllm18convert_fp8_kernelIthLNS_18Fp8KVCacheDataTypeE1EEEvPKT0_PT_fl.uses_vcc, 1
	.set _ZN4vllm18convert_fp8_kernelIthLNS_18Fp8KVCacheDataTypeE1EEEvPKT0_PT_fl.uses_flat_scratch, 0
	.set _ZN4vllm18convert_fp8_kernelIthLNS_18Fp8KVCacheDataTypeE1EEEvPKT0_PT_fl.has_dyn_sized_stack, 0
	.set _ZN4vllm18convert_fp8_kernelIthLNS_18Fp8KVCacheDataTypeE1EEEvPKT0_PT_fl.has_recursion, 0
	.set _ZN4vllm18convert_fp8_kernelIthLNS_18Fp8KVCacheDataTypeE1EEEvPKT0_PT_fl.has_indirect_call, 0
	.section	.AMDGPU.csdata,"",@progbits
; Kernel info:
; codeLenInByte = 376
; TotalNumSgprs: 22
; NumVgprs: 15
; ScratchSize: 0
; MemoryBound: 0
; FloatMode: 240
; IeeeMode: 1
; LDSByteSize: 0 bytes/workgroup (compile time only)
; SGPRBlocks: 2
; VGPRBlocks: 3
; NumSGPRsForWavesPerEU: 22
; NumVGPRsForWavesPerEU: 15
; Occupancy: 10
; WaveLimiterHint : 0
; COMPUTE_PGM_RSRC2:SCRATCH_EN: 0
; COMPUTE_PGM_RSRC2:USER_SGPR: 6
; COMPUTE_PGM_RSRC2:TRAP_HANDLER: 0
; COMPUTE_PGM_RSRC2:TGID_X_EN: 1
; COMPUTE_PGM_RSRC2:TGID_Y_EN: 0
; COMPUTE_PGM_RSRC2:TGID_Z_EN: 0
; COMPUTE_PGM_RSRC2:TIDIG_COMP_CNT: 0
	.section	.text._ZN4vllm18convert_fp8_kernelI14__hip_bfloat16hLNS_18Fp8KVCacheDataTypeE1EEEvPKT0_PT_fl,"axG",@progbits,_ZN4vllm18convert_fp8_kernelI14__hip_bfloat16hLNS_18Fp8KVCacheDataTypeE1EEEvPKT0_PT_fl,comdat
	.protected	_ZN4vllm18convert_fp8_kernelI14__hip_bfloat16hLNS_18Fp8KVCacheDataTypeE1EEEvPKT0_PT_fl ; -- Begin function _ZN4vllm18convert_fp8_kernelI14__hip_bfloat16hLNS_18Fp8KVCacheDataTypeE1EEEvPKT0_PT_fl
	.globl	_ZN4vllm18convert_fp8_kernelI14__hip_bfloat16hLNS_18Fp8KVCacheDataTypeE1EEEvPKT0_PT_fl
	.p2align	8
	.type	_ZN4vllm18convert_fp8_kernelI14__hip_bfloat16hLNS_18Fp8KVCacheDataTypeE1EEEvPKT0_PT_fl,@function
_ZN4vllm18convert_fp8_kernelI14__hip_bfloat16hLNS_18Fp8KVCacheDataTypeE1EEEvPKT0_PT_fl: ; @_ZN4vllm18convert_fp8_kernelI14__hip_bfloat16hLNS_18Fp8KVCacheDataTypeE1EEEvPKT0_PT_fl
; %bb.0:
	s_load_dwordx2 s[8:9], s[4:5], 0x18
	v_mov_b32_e32 v1, 0
	s_waitcnt lgkmcnt(0)
	v_cmp_gt_i64_e32 vcc, s[8:9], v[0:1]
	s_and_saveexec_b64 s[0:1], vcc
	s_cbranch_execz .LBB39_9
; %bb.1:
	s_load_dwordx4 s[0:3], s[4:5], 0x0
	s_load_dword s14, s[4:5], 0x10
	s_load_dword s7, s[4:5], 0x2c
	s_mul_i32 s4, s9, s6
	s_mul_hi_u32 s5, s8, s6
	s_add_i32 s10, s5, s4
	s_mul_i32 s15, s8, s6
	s_waitcnt lgkmcnt(0)
	s_and_b32 s16, s7, 0xffff
	v_add_u32_e32 v2, s16, v0
	s_mov_b64 s[4:5], 0
	v_mov_b32_e32 v4, s10
	v_mov_b32_e32 v5, s1
	s_movk_i32 s1, 0x80
	s_movk_i32 s17, 0x7f
	;; [unrolled: 1-line block ×3, first 2 shown]
	v_mov_b32_e32 v6, s3
	v_bfrev_b32_e32 v7, 60
	s_branch .LBB39_5
.LBB39_2:                               ;   in Loop: Header=BB39_5 Depth=1
	s_or_b64 exec, exec, s[12:13]
.LBB39_3:                               ;   in Loop: Header=BB39_5 Depth=1
	s_or_b64 exec, exec, s[10:11]
.LBB39_4:                               ;   in Loop: Header=BB39_5 Depth=1
	s_or_b64 exec, exec, s[6:7]
	v_mul_f32_e32 v3, s14, v9
	v_bfe_u32 v8, v3, 16, 1
	v_lshlrev_b64 v[0:1], 1, v[0:1]
	v_add3_u32 v8, v8, v3, s18
	v_or_b32_e32 v9, 0x400000, v3
	v_cmp_u_f32_e32 vcc, v3, v3
	v_cndmask_b32_e32 v3, v8, v9, vcc
	v_add_co_u32_e32 v0, vcc, s2, v0
	v_addc_co_u32_e32 v1, vcc, v6, v1, vcc
	global_store_short_d16_hi v[0:1], v3, off
	v_ashrrev_i32_e32 v3, 31, v2
	v_cmp_le_i64_e32 vcc, s[8:9], v[2:3]
	v_mov_b32_e32 v0, v2
	v_mov_b32_e32 v1, v3
	s_or_b64 s[4:5], vcc, s[4:5]
	v_add_u32_e32 v2, s16, v2
	s_andn2_b64 exec, exec, s[4:5]
	s_cbranch_execz .LBB39_9
.LBB39_5:                               ; =>This Inner Loop Header: Depth=1
	v_add_co_u32_e32 v0, vcc, s15, v0
	v_addc_co_u32_e32 v1, vcc, v1, v4, vcc
	v_add_co_u32_e32 v8, vcc, s0, v0
	v_addc_co_u32_e32 v9, vcc, v5, v1, vcc
	global_load_ubyte v8, v[8:9], off
	v_mov_b32_e32 v9, 0
	s_waitcnt vmcnt(0)
	v_cmp_ne_u16_e32 vcc, 0, v8
	s_and_saveexec_b64 s[6:7], vcc
	s_cbranch_execz .LBB39_4
; %bb.6:                                ;   in Loop: Header=BB39_5 Depth=1
	v_cmp_ne_u16_e32 vcc, s1, v8
	v_bfrev_b32_e32 v9, 1
	s_and_saveexec_b64 s[10:11], vcc
	s_cbranch_execz .LBB39_3
; %bb.7:                                ;   in Loop: Header=BB39_5 Depth=1
	v_and_b32_e32 v3, 0xffff, v8
	v_and_b32_e32 v10, 0x7f, v3
	v_cmp_ne_u32_e32 vcc, s17, v10
	v_mov_b32_e32 v9, 0x7f800001
	s_and_saveexec_b64 s[12:13], vcc
	s_cbranch_execz .LBB39_2
; %bb.8:                                ;   in Loop: Header=BB39_5 Depth=1
	v_and_b32_e32 v9, 7, v3
	v_ffbh_u32_e32 v11, v9
	v_min_u32_e32 v14, 32, v11
	v_subrev_u32_e32 v11, 28, v14
	v_lshlrev_b64 v[11:12], v11, v[3:4]
	v_lshrrev_b32_e32 v13, 3, v10
	v_sub_u32_e32 v3, 29, v14
	v_and_b32_e32 v11, 7, v11
	v_cmp_gt_u32_e32 vcc, 8, v10
	v_cndmask_b32_e32 v3, v13, v3, vcc
	v_cndmask_b32_e32 v9, v9, v11, vcc
	v_lshlrev_b32_e32 v8, 24, v8
	v_lshlrev_b32_e32 v9, 20, v9
	v_and_b32_e32 v8, 0x80000000, v8
	v_lshl_add_u32 v3, v3, 23, v7
	v_or3_b32 v9, v8, v3, v9
	s_branch .LBB39_2
.LBB39_9:
	s_endpgm
	.section	.rodata,"a",@progbits
	.p2align	6, 0x0
	.amdhsa_kernel _ZN4vllm18convert_fp8_kernelI14__hip_bfloat16hLNS_18Fp8KVCacheDataTypeE1EEEvPKT0_PT_fl
		.amdhsa_group_segment_fixed_size 0
		.amdhsa_private_segment_fixed_size 0
		.amdhsa_kernarg_size 288
		.amdhsa_user_sgpr_count 6
		.amdhsa_user_sgpr_private_segment_buffer 1
		.amdhsa_user_sgpr_dispatch_ptr 0
		.amdhsa_user_sgpr_queue_ptr 0
		.amdhsa_user_sgpr_kernarg_segment_ptr 1
		.amdhsa_user_sgpr_dispatch_id 0
		.amdhsa_user_sgpr_flat_scratch_init 0
		.amdhsa_user_sgpr_private_segment_size 0
		.amdhsa_uses_dynamic_stack 0
		.amdhsa_system_sgpr_private_segment_wavefront_offset 0
		.amdhsa_system_sgpr_workgroup_id_x 1
		.amdhsa_system_sgpr_workgroup_id_y 0
		.amdhsa_system_sgpr_workgroup_id_z 0
		.amdhsa_system_sgpr_workgroup_info 0
		.amdhsa_system_vgpr_workitem_id 0
		.amdhsa_next_free_vgpr 15
		.amdhsa_next_free_sgpr 19
		.amdhsa_reserve_vcc 1
		.amdhsa_reserve_flat_scratch 0
		.amdhsa_float_round_mode_32 0
		.amdhsa_float_round_mode_16_64 0
		.amdhsa_float_denorm_mode_32 3
		.amdhsa_float_denorm_mode_16_64 3
		.amdhsa_dx10_clamp 1
		.amdhsa_ieee_mode 1
		.amdhsa_fp16_overflow 0
		.amdhsa_exception_fp_ieee_invalid_op 0
		.amdhsa_exception_fp_denorm_src 0
		.amdhsa_exception_fp_ieee_div_zero 0
		.amdhsa_exception_fp_ieee_overflow 0
		.amdhsa_exception_fp_ieee_underflow 0
		.amdhsa_exception_fp_ieee_inexact 0
		.amdhsa_exception_int_div_zero 0
	.end_amdhsa_kernel
	.section	.text._ZN4vllm18convert_fp8_kernelI14__hip_bfloat16hLNS_18Fp8KVCacheDataTypeE1EEEvPKT0_PT_fl,"axG",@progbits,_ZN4vllm18convert_fp8_kernelI14__hip_bfloat16hLNS_18Fp8KVCacheDataTypeE1EEEvPKT0_PT_fl,comdat
.Lfunc_end39:
	.size	_ZN4vllm18convert_fp8_kernelI14__hip_bfloat16hLNS_18Fp8KVCacheDataTypeE1EEEvPKT0_PT_fl, .Lfunc_end39-_ZN4vllm18convert_fp8_kernelI14__hip_bfloat16hLNS_18Fp8KVCacheDataTypeE1EEEvPKT0_PT_fl
                                        ; -- End function
	.set _ZN4vllm18convert_fp8_kernelI14__hip_bfloat16hLNS_18Fp8KVCacheDataTypeE1EEEvPKT0_PT_fl.num_vgpr, 15
	.set _ZN4vllm18convert_fp8_kernelI14__hip_bfloat16hLNS_18Fp8KVCacheDataTypeE1EEEvPKT0_PT_fl.num_agpr, 0
	.set _ZN4vllm18convert_fp8_kernelI14__hip_bfloat16hLNS_18Fp8KVCacheDataTypeE1EEEvPKT0_PT_fl.numbered_sgpr, 19
	.set _ZN4vllm18convert_fp8_kernelI14__hip_bfloat16hLNS_18Fp8KVCacheDataTypeE1EEEvPKT0_PT_fl.num_named_barrier, 0
	.set _ZN4vllm18convert_fp8_kernelI14__hip_bfloat16hLNS_18Fp8KVCacheDataTypeE1EEEvPKT0_PT_fl.private_seg_size, 0
	.set _ZN4vllm18convert_fp8_kernelI14__hip_bfloat16hLNS_18Fp8KVCacheDataTypeE1EEEvPKT0_PT_fl.uses_vcc, 1
	.set _ZN4vllm18convert_fp8_kernelI14__hip_bfloat16hLNS_18Fp8KVCacheDataTypeE1EEEvPKT0_PT_fl.uses_flat_scratch, 0
	.set _ZN4vllm18convert_fp8_kernelI14__hip_bfloat16hLNS_18Fp8KVCacheDataTypeE1EEEvPKT0_PT_fl.has_dyn_sized_stack, 0
	.set _ZN4vllm18convert_fp8_kernelI14__hip_bfloat16hLNS_18Fp8KVCacheDataTypeE1EEEvPKT0_PT_fl.has_recursion, 0
	.set _ZN4vllm18convert_fp8_kernelI14__hip_bfloat16hLNS_18Fp8KVCacheDataTypeE1EEEvPKT0_PT_fl.has_indirect_call, 0
	.section	.AMDGPU.csdata,"",@progbits
; Kernel info:
; codeLenInByte = 408
; TotalNumSgprs: 23
; NumVgprs: 15
; ScratchSize: 0
; MemoryBound: 0
; FloatMode: 240
; IeeeMode: 1
; LDSByteSize: 0 bytes/workgroup (compile time only)
; SGPRBlocks: 2
; VGPRBlocks: 3
; NumSGPRsForWavesPerEU: 23
; NumVGPRsForWavesPerEU: 15
; Occupancy: 10
; WaveLimiterHint : 0
; COMPUTE_PGM_RSRC2:SCRATCH_EN: 0
; COMPUTE_PGM_RSRC2:USER_SGPR: 6
; COMPUTE_PGM_RSRC2:TRAP_HANDLER: 0
; COMPUTE_PGM_RSRC2:TGID_X_EN: 1
; COMPUTE_PGM_RSRC2:TGID_Y_EN: 0
; COMPUTE_PGM_RSRC2:TGID_Z_EN: 0
; COMPUTE_PGM_RSRC2:TIDIG_COMP_CNT: 0
	.section	.text._ZN4vllm30gather_and_maybe_dequant_cacheIffLNS_18Fp8KVCacheDataTypeE0EEEvPKT0_PT_PKiS8_iillllPKfS8_,"axG",@progbits,_ZN4vllm30gather_and_maybe_dequant_cacheIffLNS_18Fp8KVCacheDataTypeE0EEEvPKT0_PT_PKiS8_iillllPKfS8_,comdat
	.protected	_ZN4vllm30gather_and_maybe_dequant_cacheIffLNS_18Fp8KVCacheDataTypeE0EEEvPKT0_PT_PKiS8_iillllPKfS8_ ; -- Begin function _ZN4vllm30gather_and_maybe_dequant_cacheIffLNS_18Fp8KVCacheDataTypeE0EEEvPKT0_PT_PKiS8_iillllPKfS8_
	.globl	_ZN4vllm30gather_and_maybe_dequant_cacheIffLNS_18Fp8KVCacheDataTypeE0EEEvPKT0_PT_PKiS8_iillllPKfS8_
	.p2align	8
	.type	_ZN4vllm30gather_and_maybe_dequant_cacheIffLNS_18Fp8KVCacheDataTypeE0EEEvPKT0_PT_PKiS8_iillllPKfS8_,@function
_ZN4vllm30gather_and_maybe_dequant_cacheIffLNS_18Fp8KVCacheDataTypeE0EEEvPKT0_PT_PKiS8_iillllPKfS8_: ; @_ZN4vllm30gather_and_maybe_dequant_cacheIffLNS_18Fp8KVCacheDataTypeE0EEEvPKT0_PT_PKiS8_iillllPKfS8_
; %bb.0:
	s_load_dwordx4 s[16:19], s[4:5], 0x18
	s_load_dword s1, s[4:5], 0x5c
	s_mov_b32 s0, s7
	s_mov_b32 s7, 0
	s_add_u32 s20, s4, 0x58
	s_addc_u32 s21, s5, 0
	s_lshl_b64 s[8:9], s[6:7], 2
	s_waitcnt lgkmcnt(0)
	s_add_u32 s2, s16, s8
	s_addc_u32 s3, s17, s9
	s_abs_i32 s7, s18
	v_cvt_f32_u32_e32 v1, s7
	s_load_dwordx2 s[26:27], s[2:3], 0x0
	s_sub_i32 s10, 0, s7
	s_ashr_i32 s14, s18, 31
	v_rcp_iflag_f32_e32 v1, v1
	s_waitcnt lgkmcnt(0)
	s_sub_i32 s12, s27, s26
	s_add_i32 s2, s18, s12
	v_mul_f32_e32 v1, 0x4f7ffffe, v1
	v_cvt_u32_f32_e32 v1, v1
	s_add_i32 s2, s2, -1
	s_ashr_i32 s3, s2, 31
	s_abs_i32 s2, s2
	v_readfirstlane_b32 s13, v1
	s_mul_i32 s10, s10, s13
	s_mul_hi_u32 s10, s13, s10
	s_add_i32 s13, s13, s10
	s_mul_hi_u32 s10, s2, s13
	s_mul_i32 s11, s10, s7
	s_sub_i32 s2, s2, s11
	s_xor_b32 s3, s3, s14
	s_add_i32 s11, s10, 1
	s_sub_i32 s15, s2, s7
	s_cmp_ge_u32 s2, s7
	s_cselect_b32 s10, s11, s10
	s_cselect_b32 s2, s15, s2
	s_add_i32 s11, s10, 1
	s_cmp_ge_u32 s2, s7
	s_cselect_b32 s2, s11, s10
	s_abs_i32 s10, s1
	v_cvt_f32_u32_e32 v1, s10
	s_xor_b32 s2, s2, s3
	s_sub_i32 s15, s2, s3
	s_sub_i32 s3, 0, s10
	v_rcp_iflag_f32_e32 v1, v1
	s_add_i32 s2, s1, s15
	s_add_i32 s2, s2, -1
	s_xor_b32 s1, s2, s1
	v_mul_f32_e32 v1, 0x4f7ffffe, v1
	v_cvt_u32_f32_e32 v1, v1
	s_abs_i32 s2, s2
	s_ashr_i32 s1, s1, 31
	v_readfirstlane_b32 s11, v1
	s_mul_i32 s3, s3, s11
	s_mul_hi_u32 s3, s11, s3
	s_add_i32 s11, s11, s3
	s_mul_hi_u32 s3, s2, s11
	s_mul_i32 s11, s3, s10
	s_sub_i32 s2, s2, s11
	s_add_i32 s11, s3, 1
	s_sub_i32 s16, s2, s10
	s_cmp_ge_u32 s2, s10
	s_cselect_b32 s3, s11, s3
	s_cselect_b32 s2, s16, s2
	s_add_i32 s11, s3, 1
	s_cmp_ge_u32 s2, s10
	s_cselect_b32 s2, s11, s3
	s_xor_b32 s2, s2, s1
	s_sub_i32 s17, s2, s1
	s_mul_i32 s16, s17, s0
	s_cmp_ge_i32 s16, s15
	s_cbranch_scc1 .LBB40_21
; %bb.1:
	s_load_dwordx2 s[10:11], s[4:5], 0x50
	s_load_dwordx4 s[0:3], s[4:5], 0x8
	s_mov_b64 s[28:29], 0
	s_waitcnt lgkmcnt(0)
	s_cmp_eq_u64 s[10:11], 0
	s_cbranch_scc1 .LBB40_3
; %bb.2:
	s_add_u32 s8, s10, s8
	s_addc_u32 s9, s11, s9
	s_load_dword s8, s[8:9], 0x0
	s_waitcnt lgkmcnt(0)
	s_ashr_i32 s9, s8, 31
	s_abs_i32 s8, s8
	s_mul_hi_u32 s10, s8, s13
	s_mul_i32 s11, s10, s7
	s_sub_i32 s8, s8, s11
	s_xor_b32 s9, s9, s14
	s_add_i32 s14, s10, 1
	s_sub_i32 s11, s8, s7
	s_cmp_ge_u32 s8, s7
	s_cselect_b32 s10, s14, s10
	s_cselect_b32 s8, s11, s8
	s_add_i32 s11, s10, 1
	s_cmp_ge_u32 s8, s7
	s_cselect_b32 s8, s11, s10
	s_xor_b32 s8, s8, s9
	s_sub_i32 s28, s8, s9
	s_ashr_i32 s29, s28, 31
.LBB40_3:
	s_load_dwordx2 s[22:23], s[4:5], 0x0
	s_add_i32 s8, s16, s17
	s_min_i32 s24, s8, s15
	s_cmp_gt_i32 s15, s8
	s_mov_b32 s27, 0
	s_cbranch_scc1 .LBB40_5
; %bb.4:
	s_abs_i32 s9, s12
	s_mul_hi_u32 s10, s9, s13
	s_mul_i32 s10, s10, s7
	s_sub_i32 s9, s9, s10
	s_ashr_i32 s8, s12, 31
	s_sub_i32 s10, s9, s7
	s_cmp_ge_u32 s9, s7
	s_cselect_b32 s9, s10, s9
	s_sub_i32 s10, s9, s7
	s_cmp_ge_u32 s9, s7
	s_cselect_b32 s7, s10, s9
	s_xor_b32 s7, s7, s8
	s_sub_i32 s27, s7, s8
	s_cmp_lg_u32 s27, 0
	s_cselect_b64 s[8:9], -1, 0
	s_cmp_lg_u64 s[8:9], 0
	s_subb_u32 s24, s24, 0
.LBB40_5:
	s_load_dwordx8 s[8:15], s[4:5], 0x28
	s_waitcnt lgkmcnt(0)
	s_mul_i32 s4, s6, s8
	s_ashr_i32 s5, s4, 31
	s_lshl_b64 s[4:5], s[4:5], 2
	s_add_u32 s4, s2, s4
	s_addc_u32 s5, s3, s5
	s_lshl_b64 s[2:3], s[28:29], 2
	s_add_u32 s28, s4, s2
	s_addc_u32 s29, s5, s3
	s_ashr_i32 s2, s26, 31
	s_mul_hi_u32 s6, s14, s26
	s_mul_i32 s2, s14, s2
	s_mul_i32 s7, s15, s26
	s_add_i32 s2, s6, s2
	s_add_i32 s3, s2, s7
	s_mul_i32 s2, s14, s26
	s_lshl_b64 s[2:3], s[2:3], 2
	s_add_u32 s8, s0, s2
	s_addc_u32 s9, s1, s3
	s_cmp_ge_i32 s16, s24
	s_cbranch_scc1 .LBB40_14
; %bb.6:
	s_cmp_gt_i32 s18, 0
	s_cselect_b64 s[2:3], -1, 0
	v_cndmask_b32_e64 v1, 0, 1, s[2:3]
	v_cmp_gt_i32_e64 s[0:1], s19, v0
	v_cmp_ne_u32_e64 s[2:3], 1, v1
	s_branch .LBB40_8
.LBB40_7:                               ;   in Loop: Header=BB40_8 Depth=1
	s_add_i32 s16, s16, 1
	s_cmp_ge_i32 s16, s24
	s_cbranch_scc1 .LBB40_14
.LBB40_8:                               ; =>This Loop Header: Depth=1
                                        ;     Child Loop BB40_11 Depth 2
                                        ;       Child Loop BB40_13 Depth 3
	s_and_b64 vcc, exec, s[2:3]
	s_cbranch_vccnz .LBB40_7
; %bb.9:                                ;   in Loop: Header=BB40_8 Depth=1
	s_ashr_i32 s17, s16, 31
	s_lshl_b64 s[4:5], s[16:17], 2
	s_add_u32 s4, s28, s4
	s_addc_u32 s5, s29, s5
	s_load_dword s4, s[4:5], 0x0
	s_mul_i32 s6, s16, s18
	s_mov_b32 s31, 0
	s_waitcnt lgkmcnt(0)
	s_ashr_i32 s5, s4, 31
	s_mul_hi_u32 s7, s10, s4
	s_mul_i32 s5, s10, s5
	s_mul_i32 s17, s11, s4
	s_add_i32 s5, s7, s5
	s_mul_i32 s4, s10, s4
	s_add_i32 s5, s5, s17
	s_lshl_b64 s[4:5], s[4:5], 2
	s_add_u32 s17, s22, s4
	s_addc_u32 s25, s23, s5
	s_ashr_i32 s4, s6, 31
	s_mul_i32 s4, s14, s4
	s_mul_hi_u32 s5, s14, s6
	s_add_i32 s4, s5, s4
	s_mul_i32 s5, s15, s6
	s_add_i32 s5, s4, s5
	s_mul_i32 s4, s14, s6
	s_lshl_b64 s[4:5], s[4:5], 2
	s_add_u32 s26, s8, s4
	s_addc_u32 s30, s9, s5
	s_branch .LBB40_11
.LBB40_10:                              ;   in Loop: Header=BB40_11 Depth=2
	s_or_b64 exec, exec, s[4:5]
	s_add_i32 s31, s31, 1
	s_cmp_eq_u32 s31, s18
	s_cbranch_scc1 .LBB40_7
.LBB40_11:                              ;   Parent Loop BB40_8 Depth=1
                                        ; =>  This Loop Header: Depth=2
                                        ;       Child Loop BB40_13 Depth 3
	s_and_saveexec_b64 s[4:5], s[0:1]
	s_cbranch_execz .LBB40_10
; %bb.12:                               ;   in Loop: Header=BB40_11 Depth=2
	s_mul_i32 s6, s13, s31
	s_mul_hi_u32 s7, s12, s31
	s_add_i32 s7, s7, s6
	s_mul_i32 s6, s12, s31
	s_lshl_b64 s[6:7], s[6:7], 2
	s_add_u32 s33, s17, s6
	s_addc_u32 s36, s25, s7
	s_mul_i32 s6, s15, s31
	s_mul_hi_u32 s7, s14, s31
	s_load_dword s35, s[20:21], 0xc
	s_add_i32 s7, s7, s6
	s_mul_i32 s6, s14, s31
	s_lshl_b64 s[6:7], s[6:7], 2
	s_add_u32 s34, s26, s6
	s_addc_u32 s37, s30, s7
	s_waitcnt lgkmcnt(0)
	s_and_b32 s35, s35, 0xffff
	s_mov_b64 s[6:7], 0
	v_mov_b32_e32 v3, s36
	v_mov_b32_e32 v4, s37
	;; [unrolled: 1-line block ×3, first 2 shown]
.LBB40_13:                              ;   Parent Loop BB40_8 Depth=1
                                        ;     Parent Loop BB40_11 Depth=2
                                        ; =>    This Inner Loop Header: Depth=3
	v_ashrrev_i32_e32 v2, 31, v1
	v_lshlrev_b64 v[5:6], 2, v[1:2]
	v_add_u32_e32 v1, s35, v1
	v_add_co_u32_e32 v7, vcc, s33, v5
	v_addc_co_u32_e32 v8, vcc, v3, v6, vcc
	global_load_dword v2, v[7:8], off
	v_add_co_u32_e32 v5, vcc, s34, v5
	v_addc_co_u32_e32 v6, vcc, v4, v6, vcc
	v_cmp_le_i32_e32 vcc, s19, v1
	s_or_b64 s[6:7], vcc, s[6:7]
	s_waitcnt vmcnt(0)
	global_store_dword v[5:6], v2, off
	s_andn2_b64 exec, exec, s[6:7]
	s_cbranch_execnz .LBB40_13
	s_branch .LBB40_10
.LBB40_14:
	s_cmp_lg_u32 s27, 0
	s_cbranch_scc0 .LBB40_21
; %bb.15:
	s_cmp_lt_i32 s27, 1
	s_cbranch_scc1 .LBB40_21
; %bb.16:
	s_ashr_i32 s25, s24, 31
	s_lshl_b64 s[0:1], s[24:25], 2
	s_add_u32 s0, s28, s0
	s_addc_u32 s1, s29, s1
	s_load_dword s0, s[0:1], 0x0
	s_mul_i32 s2, s24, s18
	v_cmp_gt_i32_e32 vcc, s19, v0
	s_waitcnt lgkmcnt(0)
	s_ashr_i32 s1, s0, 31
	s_mul_hi_u32 s3, s10, s0
	s_mul_i32 s1, s10, s1
	s_mul_i32 s4, s11, s0
	s_add_i32 s1, s3, s1
	s_mul_i32 s0, s10, s0
	s_add_i32 s1, s1, s4
	s_lshl_b64 s[0:1], s[0:1], 2
	s_add_u32 s6, s22, s0
	s_addc_u32 s7, s23, s1
	s_ashr_i32 s0, s2, 31
	s_mul_i32 s0, s14, s0
	s_mul_hi_u32 s1, s14, s2
	s_add_i32 s0, s1, s0
	s_mul_i32 s1, s15, s2
	s_add_i32 s1, s0, s1
	s_mul_i32 s0, s14, s2
	s_lshl_b64 s[0:1], s[0:1], 2
	s_add_u32 s8, s8, s0
	s_addc_u32 s9, s9, s1
	s_mov_b32 s10, 0
	s_branch .LBB40_18
.LBB40_17:                              ;   in Loop: Header=BB40_18 Depth=1
	s_or_b64 exec, exec, s[2:3]
	s_add_i32 s10, s10, 1
	s_cmp_lg_u32 s10, s27
	s_cbranch_scc0 .LBB40_21
.LBB40_18:                              ; =>This Loop Header: Depth=1
                                        ;     Child Loop BB40_20 Depth 2
	s_and_saveexec_b64 s[2:3], vcc
	s_cbranch_execz .LBB40_17
; %bb.19:                               ;   in Loop: Header=BB40_18 Depth=1
	s_mul_i32 s0, s13, s10
	s_mul_hi_u32 s1, s12, s10
	s_add_i32 s1, s1, s0
	s_mul_i32 s0, s12, s10
	s_lshl_b64 s[0:1], s[0:1], 2
	s_add_u32 s11, s6, s0
	s_addc_u32 s18, s7, s1
	s_mul_i32 s0, s15, s10
	s_mul_hi_u32 s1, s14, s10
	s_load_dword s4, s[20:21], 0xc
	s_add_i32 s1, s1, s0
	s_mul_i32 s0, s14, s10
	s_lshl_b64 s[0:1], s[0:1], 2
	s_add_u32 s16, s8, s0
	s_addc_u32 s0, s9, s1
	s_waitcnt lgkmcnt(0)
	s_and_b32 s17, s4, 0xffff
	s_mov_b64 s[4:5], 0
	v_mov_b32_e32 v3, s18
	v_mov_b32_e32 v4, s0
	v_mov_b32_e32 v1, v0
.LBB40_20:                              ;   Parent Loop BB40_18 Depth=1
                                        ; =>  This Inner Loop Header: Depth=2
	v_ashrrev_i32_e32 v2, 31, v1
	v_lshlrev_b64 v[5:6], 2, v[1:2]
	v_add_u32_e32 v1, s17, v1
	v_add_co_u32_e64 v7, s[0:1], s11, v5
	v_addc_co_u32_e64 v8, s[0:1], v3, v6, s[0:1]
	global_load_dword v2, v[7:8], off
	v_add_co_u32_e64 v5, s[0:1], s16, v5
	v_addc_co_u32_e64 v6, s[0:1], v4, v6, s[0:1]
	v_cmp_le_i32_e64 s[0:1], s19, v1
	s_or_b64 s[4:5], s[0:1], s[4:5]
	s_waitcnt vmcnt(0)
	global_store_dword v[5:6], v2, off
	s_andn2_b64 exec, exec, s[4:5]
	s_cbranch_execnz .LBB40_20
	s_branch .LBB40_17
.LBB40_21:
	s_endpgm
	.section	.rodata,"a",@progbits
	.p2align	6, 0x0
	.amdhsa_kernel _ZN4vllm30gather_and_maybe_dequant_cacheIffLNS_18Fp8KVCacheDataTypeE0EEEvPKT0_PT_PKiS8_iillllPKfS8_
		.amdhsa_group_segment_fixed_size 0
		.amdhsa_private_segment_fixed_size 0
		.amdhsa_kernarg_size 344
		.amdhsa_user_sgpr_count 6
		.amdhsa_user_sgpr_private_segment_buffer 1
		.amdhsa_user_sgpr_dispatch_ptr 0
		.amdhsa_user_sgpr_queue_ptr 0
		.amdhsa_user_sgpr_kernarg_segment_ptr 1
		.amdhsa_user_sgpr_dispatch_id 0
		.amdhsa_user_sgpr_flat_scratch_init 0
		.amdhsa_user_sgpr_private_segment_size 0
		.amdhsa_uses_dynamic_stack 0
		.amdhsa_system_sgpr_private_segment_wavefront_offset 0
		.amdhsa_system_sgpr_workgroup_id_x 1
		.amdhsa_system_sgpr_workgroup_id_y 1
		.amdhsa_system_sgpr_workgroup_id_z 0
		.amdhsa_system_sgpr_workgroup_info 0
		.amdhsa_system_vgpr_workitem_id 0
		.amdhsa_next_free_vgpr 9
		.amdhsa_next_free_sgpr 38
		.amdhsa_reserve_vcc 1
		.amdhsa_reserve_flat_scratch 0
		.amdhsa_float_round_mode_32 0
		.amdhsa_float_round_mode_16_64 0
		.amdhsa_float_denorm_mode_32 3
		.amdhsa_float_denorm_mode_16_64 3
		.amdhsa_dx10_clamp 1
		.amdhsa_ieee_mode 1
		.amdhsa_fp16_overflow 0
		.amdhsa_exception_fp_ieee_invalid_op 0
		.amdhsa_exception_fp_denorm_src 0
		.amdhsa_exception_fp_ieee_div_zero 0
		.amdhsa_exception_fp_ieee_overflow 0
		.amdhsa_exception_fp_ieee_underflow 0
		.amdhsa_exception_fp_ieee_inexact 0
		.amdhsa_exception_int_div_zero 0
	.end_amdhsa_kernel
	.section	.text._ZN4vllm30gather_and_maybe_dequant_cacheIffLNS_18Fp8KVCacheDataTypeE0EEEvPKT0_PT_PKiS8_iillllPKfS8_,"axG",@progbits,_ZN4vllm30gather_and_maybe_dequant_cacheIffLNS_18Fp8KVCacheDataTypeE0EEEvPKT0_PT_PKiS8_iillllPKfS8_,comdat
.Lfunc_end40:
	.size	_ZN4vllm30gather_and_maybe_dequant_cacheIffLNS_18Fp8KVCacheDataTypeE0EEEvPKT0_PT_PKiS8_iillllPKfS8_, .Lfunc_end40-_ZN4vllm30gather_and_maybe_dequant_cacheIffLNS_18Fp8KVCacheDataTypeE0EEEvPKT0_PT_PKiS8_iillllPKfS8_
                                        ; -- End function
	.set _ZN4vllm30gather_and_maybe_dequant_cacheIffLNS_18Fp8KVCacheDataTypeE0EEEvPKT0_PT_PKiS8_iillllPKfS8_.num_vgpr, 9
	.set _ZN4vllm30gather_and_maybe_dequant_cacheIffLNS_18Fp8KVCacheDataTypeE0EEEvPKT0_PT_PKiS8_iillllPKfS8_.num_agpr, 0
	.set _ZN4vllm30gather_and_maybe_dequant_cacheIffLNS_18Fp8KVCacheDataTypeE0EEEvPKT0_PT_PKiS8_iillllPKfS8_.numbered_sgpr, 38
	.set _ZN4vllm30gather_and_maybe_dequant_cacheIffLNS_18Fp8KVCacheDataTypeE0EEEvPKT0_PT_PKiS8_iillllPKfS8_.num_named_barrier, 0
	.set _ZN4vllm30gather_and_maybe_dequant_cacheIffLNS_18Fp8KVCacheDataTypeE0EEEvPKT0_PT_PKiS8_iillllPKfS8_.private_seg_size, 0
	.set _ZN4vllm30gather_and_maybe_dequant_cacheIffLNS_18Fp8KVCacheDataTypeE0EEEvPKT0_PT_PKiS8_iillllPKfS8_.uses_vcc, 1
	.set _ZN4vllm30gather_and_maybe_dequant_cacheIffLNS_18Fp8KVCacheDataTypeE0EEEvPKT0_PT_PKiS8_iillllPKfS8_.uses_flat_scratch, 0
	.set _ZN4vllm30gather_and_maybe_dequant_cacheIffLNS_18Fp8KVCacheDataTypeE0EEEvPKT0_PT_PKiS8_iillllPKfS8_.has_dyn_sized_stack, 0
	.set _ZN4vllm30gather_and_maybe_dequant_cacheIffLNS_18Fp8KVCacheDataTypeE0EEEvPKT0_PT_PKiS8_iillllPKfS8_.has_recursion, 0
	.set _ZN4vllm30gather_and_maybe_dequant_cacheIffLNS_18Fp8KVCacheDataTypeE0EEEvPKT0_PT_PKiS8_iillllPKfS8_.has_indirect_call, 0
	.section	.AMDGPU.csdata,"",@progbits
; Kernel info:
; codeLenInByte = 1340
; TotalNumSgprs: 42
; NumVgprs: 9
; ScratchSize: 0
; MemoryBound: 0
; FloatMode: 240
; IeeeMode: 1
; LDSByteSize: 0 bytes/workgroup (compile time only)
; SGPRBlocks: 5
; VGPRBlocks: 2
; NumSGPRsForWavesPerEU: 42
; NumVGPRsForWavesPerEU: 9
; Occupancy: 10
; WaveLimiterHint : 1
; COMPUTE_PGM_RSRC2:SCRATCH_EN: 0
; COMPUTE_PGM_RSRC2:USER_SGPR: 6
; COMPUTE_PGM_RSRC2:TRAP_HANDLER: 0
; COMPUTE_PGM_RSRC2:TGID_X_EN: 1
; COMPUTE_PGM_RSRC2:TGID_Y_EN: 1
; COMPUTE_PGM_RSRC2:TGID_Z_EN: 0
; COMPUTE_PGM_RSRC2:TIDIG_COMP_CNT: 0
	.section	.text._ZN4vllm30gather_and_maybe_dequant_cacheIttLNS_18Fp8KVCacheDataTypeE0EEEvPKT0_PT_PKiS8_iillllPKfS8_,"axG",@progbits,_ZN4vllm30gather_and_maybe_dequant_cacheIttLNS_18Fp8KVCacheDataTypeE0EEEvPKT0_PT_PKiS8_iillllPKfS8_,comdat
	.protected	_ZN4vllm30gather_and_maybe_dequant_cacheIttLNS_18Fp8KVCacheDataTypeE0EEEvPKT0_PT_PKiS8_iillllPKfS8_ ; -- Begin function _ZN4vllm30gather_and_maybe_dequant_cacheIttLNS_18Fp8KVCacheDataTypeE0EEEvPKT0_PT_PKiS8_iillllPKfS8_
	.globl	_ZN4vllm30gather_and_maybe_dequant_cacheIttLNS_18Fp8KVCacheDataTypeE0EEEvPKT0_PT_PKiS8_iillllPKfS8_
	.p2align	8
	.type	_ZN4vllm30gather_and_maybe_dequant_cacheIttLNS_18Fp8KVCacheDataTypeE0EEEvPKT0_PT_PKiS8_iillllPKfS8_,@function
_ZN4vllm30gather_and_maybe_dequant_cacheIttLNS_18Fp8KVCacheDataTypeE0EEEvPKT0_PT_PKiS8_iillllPKfS8_: ; @_ZN4vllm30gather_and_maybe_dequant_cacheIttLNS_18Fp8KVCacheDataTypeE0EEEvPKT0_PT_PKiS8_iillllPKfS8_
; %bb.0:
	s_load_dwordx4 s[16:19], s[4:5], 0x18
	s_load_dword s1, s[4:5], 0x5c
	s_mov_b32 s0, s7
	s_mov_b32 s7, 0
	s_add_u32 s20, s4, 0x58
	s_addc_u32 s21, s5, 0
	s_lshl_b64 s[8:9], s[6:7], 2
	s_waitcnt lgkmcnt(0)
	s_add_u32 s2, s16, s8
	s_addc_u32 s3, s17, s9
	s_abs_i32 s7, s18
	v_cvt_f32_u32_e32 v1, s7
	s_load_dwordx2 s[26:27], s[2:3], 0x0
	s_sub_i32 s10, 0, s7
	s_ashr_i32 s14, s18, 31
	v_rcp_iflag_f32_e32 v1, v1
	s_waitcnt lgkmcnt(0)
	s_sub_i32 s12, s27, s26
	s_add_i32 s2, s18, s12
	v_mul_f32_e32 v1, 0x4f7ffffe, v1
	v_cvt_u32_f32_e32 v1, v1
	s_add_i32 s2, s2, -1
	s_ashr_i32 s3, s2, 31
	s_abs_i32 s2, s2
	v_readfirstlane_b32 s13, v1
	s_mul_i32 s10, s10, s13
	s_mul_hi_u32 s10, s13, s10
	s_add_i32 s13, s13, s10
	s_mul_hi_u32 s10, s2, s13
	s_mul_i32 s11, s10, s7
	s_sub_i32 s2, s2, s11
	s_xor_b32 s3, s3, s14
	s_add_i32 s11, s10, 1
	s_sub_i32 s15, s2, s7
	s_cmp_ge_u32 s2, s7
	s_cselect_b32 s10, s11, s10
	s_cselect_b32 s2, s15, s2
	s_add_i32 s11, s10, 1
	s_cmp_ge_u32 s2, s7
	s_cselect_b32 s2, s11, s10
	s_abs_i32 s10, s1
	v_cvt_f32_u32_e32 v1, s10
	s_xor_b32 s2, s2, s3
	s_sub_i32 s15, s2, s3
	s_sub_i32 s3, 0, s10
	v_rcp_iflag_f32_e32 v1, v1
	s_add_i32 s2, s1, s15
	s_add_i32 s2, s2, -1
	s_xor_b32 s1, s2, s1
	v_mul_f32_e32 v1, 0x4f7ffffe, v1
	v_cvt_u32_f32_e32 v1, v1
	s_abs_i32 s2, s2
	s_ashr_i32 s1, s1, 31
	v_readfirstlane_b32 s11, v1
	s_mul_i32 s3, s3, s11
	s_mul_hi_u32 s3, s11, s3
	s_add_i32 s11, s11, s3
	s_mul_hi_u32 s3, s2, s11
	s_mul_i32 s11, s3, s10
	s_sub_i32 s2, s2, s11
	s_add_i32 s11, s3, 1
	s_sub_i32 s16, s2, s10
	s_cmp_ge_u32 s2, s10
	s_cselect_b32 s3, s11, s3
	s_cselect_b32 s2, s16, s2
	s_add_i32 s11, s3, 1
	s_cmp_ge_u32 s2, s10
	s_cselect_b32 s2, s11, s3
	s_xor_b32 s2, s2, s1
	s_sub_i32 s17, s2, s1
	s_mul_i32 s16, s17, s0
	s_cmp_ge_i32 s16, s15
	s_cbranch_scc1 .LBB41_21
; %bb.1:
	s_load_dwordx2 s[10:11], s[4:5], 0x50
	s_load_dwordx4 s[0:3], s[4:5], 0x8
	s_mov_b64 s[28:29], 0
	s_waitcnt lgkmcnt(0)
	s_cmp_eq_u64 s[10:11], 0
	s_cbranch_scc1 .LBB41_3
; %bb.2:
	s_add_u32 s8, s10, s8
	s_addc_u32 s9, s11, s9
	s_load_dword s8, s[8:9], 0x0
	s_waitcnt lgkmcnt(0)
	s_ashr_i32 s9, s8, 31
	s_abs_i32 s8, s8
	s_mul_hi_u32 s10, s8, s13
	s_mul_i32 s11, s10, s7
	s_sub_i32 s8, s8, s11
	s_xor_b32 s9, s9, s14
	s_add_i32 s14, s10, 1
	s_sub_i32 s11, s8, s7
	s_cmp_ge_u32 s8, s7
	s_cselect_b32 s10, s14, s10
	s_cselect_b32 s8, s11, s8
	s_add_i32 s11, s10, 1
	s_cmp_ge_u32 s8, s7
	s_cselect_b32 s8, s11, s10
	s_xor_b32 s8, s8, s9
	s_sub_i32 s28, s8, s9
	s_ashr_i32 s29, s28, 31
.LBB41_3:
	s_load_dwordx2 s[22:23], s[4:5], 0x0
	s_add_i32 s8, s16, s17
	s_min_i32 s24, s8, s15
	s_cmp_gt_i32 s15, s8
	s_mov_b32 s27, 0
	s_cbranch_scc1 .LBB41_5
; %bb.4:
	s_abs_i32 s9, s12
	s_mul_hi_u32 s10, s9, s13
	s_mul_i32 s10, s10, s7
	s_sub_i32 s9, s9, s10
	s_ashr_i32 s8, s12, 31
	s_sub_i32 s10, s9, s7
	s_cmp_ge_u32 s9, s7
	s_cselect_b32 s9, s10, s9
	s_sub_i32 s10, s9, s7
	s_cmp_ge_u32 s9, s7
	s_cselect_b32 s7, s10, s9
	s_xor_b32 s7, s7, s8
	s_sub_i32 s27, s7, s8
	s_cmp_lg_u32 s27, 0
	s_cselect_b64 s[8:9], -1, 0
	s_cmp_lg_u64 s[8:9], 0
	s_subb_u32 s24, s24, 0
.LBB41_5:
	s_load_dwordx8 s[8:15], s[4:5], 0x28
	s_waitcnt lgkmcnt(0)
	s_mul_i32 s4, s6, s8
	s_ashr_i32 s5, s4, 31
	s_lshl_b64 s[4:5], s[4:5], 2
	s_add_u32 s4, s2, s4
	s_addc_u32 s5, s3, s5
	s_lshl_b64 s[2:3], s[28:29], 2
	s_add_u32 s28, s4, s2
	s_addc_u32 s29, s5, s3
	s_ashr_i32 s2, s26, 31
	s_mul_hi_u32 s6, s14, s26
	s_mul_i32 s2, s14, s2
	s_mul_i32 s7, s15, s26
	s_add_i32 s2, s6, s2
	s_add_i32 s3, s2, s7
	s_mul_i32 s2, s14, s26
	s_lshl_b64 s[2:3], s[2:3], 1
	s_add_u32 s8, s0, s2
	s_addc_u32 s9, s1, s3
	s_cmp_ge_i32 s16, s24
	s_cbranch_scc1 .LBB41_14
; %bb.6:
	s_cmp_gt_i32 s18, 0
	s_cselect_b64 s[2:3], -1, 0
	v_cndmask_b32_e64 v1, 0, 1, s[2:3]
	v_cmp_gt_i32_e64 s[0:1], s19, v0
	v_cmp_ne_u32_e64 s[2:3], 1, v1
	s_branch .LBB41_8
.LBB41_7:                               ;   in Loop: Header=BB41_8 Depth=1
	s_add_i32 s16, s16, 1
	s_cmp_ge_i32 s16, s24
	s_cbranch_scc1 .LBB41_14
.LBB41_8:                               ; =>This Loop Header: Depth=1
                                        ;     Child Loop BB41_11 Depth 2
                                        ;       Child Loop BB41_13 Depth 3
	s_and_b64 vcc, exec, s[2:3]
	s_cbranch_vccnz .LBB41_7
; %bb.9:                                ;   in Loop: Header=BB41_8 Depth=1
	s_ashr_i32 s17, s16, 31
	s_lshl_b64 s[4:5], s[16:17], 2
	s_add_u32 s4, s28, s4
	s_addc_u32 s5, s29, s5
	s_load_dword s4, s[4:5], 0x0
	s_mul_i32 s6, s16, s18
	s_mov_b32 s31, 0
	s_waitcnt lgkmcnt(0)
	s_ashr_i32 s5, s4, 31
	s_mul_hi_u32 s7, s10, s4
	s_mul_i32 s5, s10, s5
	s_mul_i32 s17, s11, s4
	s_add_i32 s5, s7, s5
	s_mul_i32 s4, s10, s4
	s_add_i32 s5, s5, s17
	s_lshl_b64 s[4:5], s[4:5], 1
	s_add_u32 s17, s22, s4
	s_addc_u32 s25, s23, s5
	s_ashr_i32 s4, s6, 31
	s_mul_i32 s4, s14, s4
	s_mul_hi_u32 s5, s14, s6
	s_add_i32 s4, s5, s4
	s_mul_i32 s5, s15, s6
	s_add_i32 s5, s4, s5
	s_mul_i32 s4, s14, s6
	s_lshl_b64 s[4:5], s[4:5], 1
	s_add_u32 s26, s8, s4
	s_addc_u32 s30, s9, s5
	s_branch .LBB41_11
.LBB41_10:                              ;   in Loop: Header=BB41_11 Depth=2
	s_or_b64 exec, exec, s[4:5]
	s_add_i32 s31, s31, 1
	s_cmp_eq_u32 s31, s18
	s_cbranch_scc1 .LBB41_7
.LBB41_11:                              ;   Parent Loop BB41_8 Depth=1
                                        ; =>  This Loop Header: Depth=2
                                        ;       Child Loop BB41_13 Depth 3
	s_and_saveexec_b64 s[4:5], s[0:1]
	s_cbranch_execz .LBB41_10
; %bb.12:                               ;   in Loop: Header=BB41_11 Depth=2
	s_mul_i32 s6, s13, s31
	s_mul_hi_u32 s7, s12, s31
	s_add_i32 s7, s7, s6
	s_mul_i32 s6, s12, s31
	s_lshl_b64 s[6:7], s[6:7], 1
	s_add_u32 s33, s17, s6
	s_addc_u32 s36, s25, s7
	s_mul_i32 s6, s15, s31
	s_mul_hi_u32 s7, s14, s31
	s_load_dword s35, s[20:21], 0xc
	s_add_i32 s7, s7, s6
	s_mul_i32 s6, s14, s31
	s_lshl_b64 s[6:7], s[6:7], 1
	s_add_u32 s34, s26, s6
	s_addc_u32 s37, s30, s7
	s_waitcnt lgkmcnt(0)
	s_and_b32 s35, s35, 0xffff
	s_mov_b64 s[6:7], 0
	v_mov_b32_e32 v3, s36
	v_mov_b32_e32 v4, s37
	v_mov_b32_e32 v1, v0
.LBB41_13:                              ;   Parent Loop BB41_8 Depth=1
                                        ;     Parent Loop BB41_11 Depth=2
                                        ; =>    This Inner Loop Header: Depth=3
	v_ashrrev_i32_e32 v2, 31, v1
	v_lshlrev_b64 v[5:6], 1, v[1:2]
	v_add_u32_e32 v1, s35, v1
	v_add_co_u32_e32 v7, vcc, s33, v5
	v_addc_co_u32_e32 v8, vcc, v3, v6, vcc
	global_load_ushort v2, v[7:8], off
	v_add_co_u32_e32 v5, vcc, s34, v5
	v_addc_co_u32_e32 v6, vcc, v4, v6, vcc
	v_cmp_le_i32_e32 vcc, s19, v1
	s_or_b64 s[6:7], vcc, s[6:7]
	s_waitcnt vmcnt(0)
	global_store_short v[5:6], v2, off
	s_andn2_b64 exec, exec, s[6:7]
	s_cbranch_execnz .LBB41_13
	s_branch .LBB41_10
.LBB41_14:
	s_cmp_lg_u32 s27, 0
	s_cbranch_scc0 .LBB41_21
; %bb.15:
	s_cmp_lt_i32 s27, 1
	s_cbranch_scc1 .LBB41_21
; %bb.16:
	s_ashr_i32 s25, s24, 31
	s_lshl_b64 s[0:1], s[24:25], 2
	s_add_u32 s0, s28, s0
	s_addc_u32 s1, s29, s1
	s_load_dword s0, s[0:1], 0x0
	s_mul_i32 s2, s24, s18
	v_cmp_gt_i32_e32 vcc, s19, v0
	s_waitcnt lgkmcnt(0)
	s_ashr_i32 s1, s0, 31
	s_mul_hi_u32 s3, s10, s0
	s_mul_i32 s1, s10, s1
	s_mul_i32 s4, s11, s0
	s_add_i32 s1, s3, s1
	s_mul_i32 s0, s10, s0
	s_add_i32 s1, s1, s4
	s_lshl_b64 s[0:1], s[0:1], 1
	s_add_u32 s6, s22, s0
	s_addc_u32 s7, s23, s1
	s_ashr_i32 s0, s2, 31
	s_mul_i32 s0, s14, s0
	s_mul_hi_u32 s1, s14, s2
	s_add_i32 s0, s1, s0
	s_mul_i32 s1, s15, s2
	s_add_i32 s1, s0, s1
	s_mul_i32 s0, s14, s2
	s_lshl_b64 s[0:1], s[0:1], 1
	s_add_u32 s8, s8, s0
	s_addc_u32 s9, s9, s1
	s_mov_b32 s10, 0
	s_branch .LBB41_18
.LBB41_17:                              ;   in Loop: Header=BB41_18 Depth=1
	s_or_b64 exec, exec, s[2:3]
	s_add_i32 s10, s10, 1
	s_cmp_lg_u32 s10, s27
	s_cbranch_scc0 .LBB41_21
.LBB41_18:                              ; =>This Loop Header: Depth=1
                                        ;     Child Loop BB41_20 Depth 2
	s_and_saveexec_b64 s[2:3], vcc
	s_cbranch_execz .LBB41_17
; %bb.19:                               ;   in Loop: Header=BB41_18 Depth=1
	s_mul_i32 s0, s13, s10
	s_mul_hi_u32 s1, s12, s10
	s_add_i32 s1, s1, s0
	s_mul_i32 s0, s12, s10
	s_lshl_b64 s[0:1], s[0:1], 1
	s_add_u32 s11, s6, s0
	s_addc_u32 s18, s7, s1
	s_mul_i32 s0, s15, s10
	s_mul_hi_u32 s1, s14, s10
	s_load_dword s4, s[20:21], 0xc
	s_add_i32 s1, s1, s0
	s_mul_i32 s0, s14, s10
	s_lshl_b64 s[0:1], s[0:1], 1
	s_add_u32 s16, s8, s0
	s_addc_u32 s0, s9, s1
	s_waitcnt lgkmcnt(0)
	s_and_b32 s17, s4, 0xffff
	s_mov_b64 s[4:5], 0
	v_mov_b32_e32 v3, s18
	v_mov_b32_e32 v4, s0
	;; [unrolled: 1-line block ×3, first 2 shown]
.LBB41_20:                              ;   Parent Loop BB41_18 Depth=1
                                        ; =>  This Inner Loop Header: Depth=2
	v_ashrrev_i32_e32 v2, 31, v1
	v_lshlrev_b64 v[5:6], 1, v[1:2]
	v_add_u32_e32 v1, s17, v1
	v_add_co_u32_e64 v7, s[0:1], s11, v5
	v_addc_co_u32_e64 v8, s[0:1], v3, v6, s[0:1]
	global_load_ushort v2, v[7:8], off
	v_add_co_u32_e64 v5, s[0:1], s16, v5
	v_addc_co_u32_e64 v6, s[0:1], v4, v6, s[0:1]
	v_cmp_le_i32_e64 s[0:1], s19, v1
	s_or_b64 s[4:5], s[0:1], s[4:5]
	s_waitcnt vmcnt(0)
	global_store_short v[5:6], v2, off
	s_andn2_b64 exec, exec, s[4:5]
	s_cbranch_execnz .LBB41_20
	s_branch .LBB41_17
.LBB41_21:
	s_endpgm
	.section	.rodata,"a",@progbits
	.p2align	6, 0x0
	.amdhsa_kernel _ZN4vllm30gather_and_maybe_dequant_cacheIttLNS_18Fp8KVCacheDataTypeE0EEEvPKT0_PT_PKiS8_iillllPKfS8_
		.amdhsa_group_segment_fixed_size 0
		.amdhsa_private_segment_fixed_size 0
		.amdhsa_kernarg_size 344
		.amdhsa_user_sgpr_count 6
		.amdhsa_user_sgpr_private_segment_buffer 1
		.amdhsa_user_sgpr_dispatch_ptr 0
		.amdhsa_user_sgpr_queue_ptr 0
		.amdhsa_user_sgpr_kernarg_segment_ptr 1
		.amdhsa_user_sgpr_dispatch_id 0
		.amdhsa_user_sgpr_flat_scratch_init 0
		.amdhsa_user_sgpr_private_segment_size 0
		.amdhsa_uses_dynamic_stack 0
		.amdhsa_system_sgpr_private_segment_wavefront_offset 0
		.amdhsa_system_sgpr_workgroup_id_x 1
		.amdhsa_system_sgpr_workgroup_id_y 1
		.amdhsa_system_sgpr_workgroup_id_z 0
		.amdhsa_system_sgpr_workgroup_info 0
		.amdhsa_system_vgpr_workitem_id 0
		.amdhsa_next_free_vgpr 9
		.amdhsa_next_free_sgpr 38
		.amdhsa_reserve_vcc 1
		.amdhsa_reserve_flat_scratch 0
		.amdhsa_float_round_mode_32 0
		.amdhsa_float_round_mode_16_64 0
		.amdhsa_float_denorm_mode_32 3
		.amdhsa_float_denorm_mode_16_64 3
		.amdhsa_dx10_clamp 1
		.amdhsa_ieee_mode 1
		.amdhsa_fp16_overflow 0
		.amdhsa_exception_fp_ieee_invalid_op 0
		.amdhsa_exception_fp_denorm_src 0
		.amdhsa_exception_fp_ieee_div_zero 0
		.amdhsa_exception_fp_ieee_overflow 0
		.amdhsa_exception_fp_ieee_underflow 0
		.amdhsa_exception_fp_ieee_inexact 0
		.amdhsa_exception_int_div_zero 0
	.end_amdhsa_kernel
	.section	.text._ZN4vllm30gather_and_maybe_dequant_cacheIttLNS_18Fp8KVCacheDataTypeE0EEEvPKT0_PT_PKiS8_iillllPKfS8_,"axG",@progbits,_ZN4vllm30gather_and_maybe_dequant_cacheIttLNS_18Fp8KVCacheDataTypeE0EEEvPKT0_PT_PKiS8_iillllPKfS8_,comdat
.Lfunc_end41:
	.size	_ZN4vllm30gather_and_maybe_dequant_cacheIttLNS_18Fp8KVCacheDataTypeE0EEEvPKT0_PT_PKiS8_iillllPKfS8_, .Lfunc_end41-_ZN4vllm30gather_and_maybe_dequant_cacheIttLNS_18Fp8KVCacheDataTypeE0EEEvPKT0_PT_PKiS8_iillllPKfS8_
                                        ; -- End function
	.set _ZN4vllm30gather_and_maybe_dequant_cacheIttLNS_18Fp8KVCacheDataTypeE0EEEvPKT0_PT_PKiS8_iillllPKfS8_.num_vgpr, 9
	.set _ZN4vllm30gather_and_maybe_dequant_cacheIttLNS_18Fp8KVCacheDataTypeE0EEEvPKT0_PT_PKiS8_iillllPKfS8_.num_agpr, 0
	.set _ZN4vllm30gather_and_maybe_dequant_cacheIttLNS_18Fp8KVCacheDataTypeE0EEEvPKT0_PT_PKiS8_iillllPKfS8_.numbered_sgpr, 38
	.set _ZN4vllm30gather_and_maybe_dequant_cacheIttLNS_18Fp8KVCacheDataTypeE0EEEvPKT0_PT_PKiS8_iillllPKfS8_.num_named_barrier, 0
	.set _ZN4vllm30gather_and_maybe_dequant_cacheIttLNS_18Fp8KVCacheDataTypeE0EEEvPKT0_PT_PKiS8_iillllPKfS8_.private_seg_size, 0
	.set _ZN4vllm30gather_and_maybe_dequant_cacheIttLNS_18Fp8KVCacheDataTypeE0EEEvPKT0_PT_PKiS8_iillllPKfS8_.uses_vcc, 1
	.set _ZN4vllm30gather_and_maybe_dequant_cacheIttLNS_18Fp8KVCacheDataTypeE0EEEvPKT0_PT_PKiS8_iillllPKfS8_.uses_flat_scratch, 0
	.set _ZN4vllm30gather_and_maybe_dequant_cacheIttLNS_18Fp8KVCacheDataTypeE0EEEvPKT0_PT_PKiS8_iillllPKfS8_.has_dyn_sized_stack, 0
	.set _ZN4vllm30gather_and_maybe_dequant_cacheIttLNS_18Fp8KVCacheDataTypeE0EEEvPKT0_PT_PKiS8_iillllPKfS8_.has_recursion, 0
	.set _ZN4vllm30gather_and_maybe_dequant_cacheIttLNS_18Fp8KVCacheDataTypeE0EEEvPKT0_PT_PKiS8_iillllPKfS8_.has_indirect_call, 0
	.section	.AMDGPU.csdata,"",@progbits
; Kernel info:
; codeLenInByte = 1340
; TotalNumSgprs: 42
; NumVgprs: 9
; ScratchSize: 0
; MemoryBound: 0
; FloatMode: 240
; IeeeMode: 1
; LDSByteSize: 0 bytes/workgroup (compile time only)
; SGPRBlocks: 5
; VGPRBlocks: 2
; NumSGPRsForWavesPerEU: 42
; NumVGPRsForWavesPerEU: 9
; Occupancy: 10
; WaveLimiterHint : 1
; COMPUTE_PGM_RSRC2:SCRATCH_EN: 0
; COMPUTE_PGM_RSRC2:USER_SGPR: 6
; COMPUTE_PGM_RSRC2:TRAP_HANDLER: 0
; COMPUTE_PGM_RSRC2:TGID_X_EN: 1
; COMPUTE_PGM_RSRC2:TGID_Y_EN: 1
; COMPUTE_PGM_RSRC2:TGID_Z_EN: 0
; COMPUTE_PGM_RSRC2:TIDIG_COMP_CNT: 0
	.section	.text._ZN4vllm30gather_and_maybe_dequant_cacheI14__hip_bfloat16S1_LNS_18Fp8KVCacheDataTypeE0EEEvPKT0_PT_PKiS9_iillllPKfS9_,"axG",@progbits,_ZN4vllm30gather_and_maybe_dequant_cacheI14__hip_bfloat16S1_LNS_18Fp8KVCacheDataTypeE0EEEvPKT0_PT_PKiS9_iillllPKfS9_,comdat
	.protected	_ZN4vllm30gather_and_maybe_dequant_cacheI14__hip_bfloat16S1_LNS_18Fp8KVCacheDataTypeE0EEEvPKT0_PT_PKiS9_iillllPKfS9_ ; -- Begin function _ZN4vllm30gather_and_maybe_dequant_cacheI14__hip_bfloat16S1_LNS_18Fp8KVCacheDataTypeE0EEEvPKT0_PT_PKiS9_iillllPKfS9_
	.globl	_ZN4vllm30gather_and_maybe_dequant_cacheI14__hip_bfloat16S1_LNS_18Fp8KVCacheDataTypeE0EEEvPKT0_PT_PKiS9_iillllPKfS9_
	.p2align	8
	.type	_ZN4vllm30gather_and_maybe_dequant_cacheI14__hip_bfloat16S1_LNS_18Fp8KVCacheDataTypeE0EEEvPKT0_PT_PKiS9_iillllPKfS9_,@function
_ZN4vllm30gather_and_maybe_dequant_cacheI14__hip_bfloat16S1_LNS_18Fp8KVCacheDataTypeE0EEEvPKT0_PT_PKiS9_iillllPKfS9_: ; @_ZN4vllm30gather_and_maybe_dequant_cacheI14__hip_bfloat16S1_LNS_18Fp8KVCacheDataTypeE0EEEvPKT0_PT_PKiS9_iillllPKfS9_
; %bb.0:
	s_load_dwordx4 s[16:19], s[4:5], 0x18
	s_load_dword s1, s[4:5], 0x5c
	s_mov_b32 s0, s7
	s_mov_b32 s7, 0
	s_add_u32 s20, s4, 0x58
	s_addc_u32 s21, s5, 0
	s_lshl_b64 s[8:9], s[6:7], 2
	s_waitcnt lgkmcnt(0)
	s_add_u32 s2, s16, s8
	s_addc_u32 s3, s17, s9
	s_abs_i32 s7, s18
	v_cvt_f32_u32_e32 v1, s7
	s_load_dwordx2 s[26:27], s[2:3], 0x0
	s_sub_i32 s10, 0, s7
	s_ashr_i32 s14, s18, 31
	v_rcp_iflag_f32_e32 v1, v1
	s_waitcnt lgkmcnt(0)
	s_sub_i32 s12, s27, s26
	s_add_i32 s2, s18, s12
	v_mul_f32_e32 v1, 0x4f7ffffe, v1
	v_cvt_u32_f32_e32 v1, v1
	s_add_i32 s2, s2, -1
	s_ashr_i32 s3, s2, 31
	s_abs_i32 s2, s2
	v_readfirstlane_b32 s13, v1
	s_mul_i32 s10, s10, s13
	s_mul_hi_u32 s10, s13, s10
	s_add_i32 s13, s13, s10
	s_mul_hi_u32 s10, s2, s13
	s_mul_i32 s11, s10, s7
	s_sub_i32 s2, s2, s11
	s_xor_b32 s3, s3, s14
	s_add_i32 s11, s10, 1
	s_sub_i32 s15, s2, s7
	s_cmp_ge_u32 s2, s7
	s_cselect_b32 s10, s11, s10
	s_cselect_b32 s2, s15, s2
	s_add_i32 s11, s10, 1
	s_cmp_ge_u32 s2, s7
	s_cselect_b32 s2, s11, s10
	s_abs_i32 s10, s1
	v_cvt_f32_u32_e32 v1, s10
	s_xor_b32 s2, s2, s3
	s_sub_i32 s15, s2, s3
	s_sub_i32 s3, 0, s10
	v_rcp_iflag_f32_e32 v1, v1
	s_add_i32 s2, s1, s15
	s_add_i32 s2, s2, -1
	s_xor_b32 s1, s2, s1
	v_mul_f32_e32 v1, 0x4f7ffffe, v1
	v_cvt_u32_f32_e32 v1, v1
	s_abs_i32 s2, s2
	s_ashr_i32 s1, s1, 31
	v_readfirstlane_b32 s11, v1
	s_mul_i32 s3, s3, s11
	s_mul_hi_u32 s3, s11, s3
	s_add_i32 s11, s11, s3
	s_mul_hi_u32 s3, s2, s11
	s_mul_i32 s11, s3, s10
	s_sub_i32 s2, s2, s11
	s_add_i32 s11, s3, 1
	s_sub_i32 s16, s2, s10
	s_cmp_ge_u32 s2, s10
	s_cselect_b32 s3, s11, s3
	s_cselect_b32 s2, s16, s2
	s_add_i32 s11, s3, 1
	s_cmp_ge_u32 s2, s10
	s_cselect_b32 s2, s11, s3
	s_xor_b32 s2, s2, s1
	s_sub_i32 s17, s2, s1
	s_mul_i32 s16, s17, s0
	s_cmp_ge_i32 s16, s15
	s_cbranch_scc1 .LBB42_21
; %bb.1:
	s_load_dwordx2 s[10:11], s[4:5], 0x50
	s_load_dwordx4 s[0:3], s[4:5], 0x8
	s_mov_b64 s[28:29], 0
	s_waitcnt lgkmcnt(0)
	s_cmp_eq_u64 s[10:11], 0
	s_cbranch_scc1 .LBB42_3
; %bb.2:
	s_add_u32 s8, s10, s8
	s_addc_u32 s9, s11, s9
	s_load_dword s8, s[8:9], 0x0
	s_waitcnt lgkmcnt(0)
	s_ashr_i32 s9, s8, 31
	s_abs_i32 s8, s8
	s_mul_hi_u32 s10, s8, s13
	s_mul_i32 s11, s10, s7
	s_sub_i32 s8, s8, s11
	s_xor_b32 s9, s9, s14
	s_add_i32 s14, s10, 1
	s_sub_i32 s11, s8, s7
	s_cmp_ge_u32 s8, s7
	s_cselect_b32 s10, s14, s10
	s_cselect_b32 s8, s11, s8
	s_add_i32 s11, s10, 1
	s_cmp_ge_u32 s8, s7
	s_cselect_b32 s8, s11, s10
	s_xor_b32 s8, s8, s9
	s_sub_i32 s28, s8, s9
	s_ashr_i32 s29, s28, 31
.LBB42_3:
	s_load_dwordx2 s[22:23], s[4:5], 0x0
	s_add_i32 s8, s16, s17
	s_min_i32 s24, s8, s15
	s_cmp_gt_i32 s15, s8
	s_mov_b32 s27, 0
	s_cbranch_scc1 .LBB42_5
; %bb.4:
	s_abs_i32 s9, s12
	s_mul_hi_u32 s10, s9, s13
	s_mul_i32 s10, s10, s7
	s_sub_i32 s9, s9, s10
	s_ashr_i32 s8, s12, 31
	s_sub_i32 s10, s9, s7
	s_cmp_ge_u32 s9, s7
	s_cselect_b32 s9, s10, s9
	s_sub_i32 s10, s9, s7
	s_cmp_ge_u32 s9, s7
	s_cselect_b32 s7, s10, s9
	s_xor_b32 s7, s7, s8
	s_sub_i32 s27, s7, s8
	s_cmp_lg_u32 s27, 0
	s_cselect_b64 s[8:9], -1, 0
	s_cmp_lg_u64 s[8:9], 0
	s_subb_u32 s24, s24, 0
.LBB42_5:
	s_load_dwordx8 s[8:15], s[4:5], 0x28
	s_waitcnt lgkmcnt(0)
	s_mul_i32 s4, s6, s8
	s_ashr_i32 s5, s4, 31
	s_lshl_b64 s[4:5], s[4:5], 2
	s_add_u32 s4, s2, s4
	s_addc_u32 s5, s3, s5
	s_lshl_b64 s[2:3], s[28:29], 2
	s_add_u32 s28, s4, s2
	s_addc_u32 s29, s5, s3
	s_ashr_i32 s2, s26, 31
	s_mul_hi_u32 s6, s14, s26
	s_mul_i32 s2, s14, s2
	s_mul_i32 s7, s15, s26
	s_add_i32 s2, s6, s2
	s_add_i32 s3, s2, s7
	s_mul_i32 s2, s14, s26
	s_lshl_b64 s[2:3], s[2:3], 1
	s_add_u32 s8, s0, s2
	s_addc_u32 s9, s1, s3
	s_cmp_ge_i32 s16, s24
	s_cbranch_scc1 .LBB42_14
; %bb.6:
	s_cmp_gt_i32 s18, 0
	s_cselect_b64 s[2:3], -1, 0
	v_cndmask_b32_e64 v1, 0, 1, s[2:3]
	v_cmp_gt_i32_e64 s[0:1], s19, v0
	v_cmp_ne_u32_e64 s[2:3], 1, v1
	s_branch .LBB42_8
.LBB42_7:                               ;   in Loop: Header=BB42_8 Depth=1
	s_add_i32 s16, s16, 1
	s_cmp_ge_i32 s16, s24
	s_cbranch_scc1 .LBB42_14
.LBB42_8:                               ; =>This Loop Header: Depth=1
                                        ;     Child Loop BB42_11 Depth 2
                                        ;       Child Loop BB42_13 Depth 3
	s_and_b64 vcc, exec, s[2:3]
	s_cbranch_vccnz .LBB42_7
; %bb.9:                                ;   in Loop: Header=BB42_8 Depth=1
	s_ashr_i32 s17, s16, 31
	s_lshl_b64 s[4:5], s[16:17], 2
	s_add_u32 s4, s28, s4
	s_addc_u32 s5, s29, s5
	s_load_dword s4, s[4:5], 0x0
	s_mul_i32 s6, s16, s18
	s_mov_b32 s31, 0
	s_waitcnt lgkmcnt(0)
	s_ashr_i32 s5, s4, 31
	s_mul_hi_u32 s7, s10, s4
	s_mul_i32 s5, s10, s5
	s_mul_i32 s17, s11, s4
	s_add_i32 s5, s7, s5
	s_mul_i32 s4, s10, s4
	s_add_i32 s5, s5, s17
	s_lshl_b64 s[4:5], s[4:5], 1
	s_add_u32 s17, s22, s4
	s_addc_u32 s25, s23, s5
	s_ashr_i32 s4, s6, 31
	s_mul_i32 s4, s14, s4
	s_mul_hi_u32 s5, s14, s6
	s_add_i32 s4, s5, s4
	s_mul_i32 s5, s15, s6
	s_add_i32 s5, s4, s5
	s_mul_i32 s4, s14, s6
	s_lshl_b64 s[4:5], s[4:5], 1
	s_add_u32 s26, s8, s4
	s_addc_u32 s30, s9, s5
	s_branch .LBB42_11
.LBB42_10:                              ;   in Loop: Header=BB42_11 Depth=2
	s_or_b64 exec, exec, s[4:5]
	s_add_i32 s31, s31, 1
	s_cmp_eq_u32 s31, s18
	s_cbranch_scc1 .LBB42_7
.LBB42_11:                              ;   Parent Loop BB42_8 Depth=1
                                        ; =>  This Loop Header: Depth=2
                                        ;       Child Loop BB42_13 Depth 3
	s_and_saveexec_b64 s[4:5], s[0:1]
	s_cbranch_execz .LBB42_10
; %bb.12:                               ;   in Loop: Header=BB42_11 Depth=2
	s_mul_i32 s6, s13, s31
	s_mul_hi_u32 s7, s12, s31
	s_add_i32 s7, s7, s6
	s_mul_i32 s6, s12, s31
	s_lshl_b64 s[6:7], s[6:7], 1
	s_add_u32 s33, s17, s6
	s_addc_u32 s36, s25, s7
	s_mul_i32 s6, s15, s31
	s_mul_hi_u32 s7, s14, s31
	s_load_dword s35, s[20:21], 0xc
	s_add_i32 s7, s7, s6
	s_mul_i32 s6, s14, s31
	s_lshl_b64 s[6:7], s[6:7], 1
	s_add_u32 s34, s26, s6
	s_addc_u32 s37, s30, s7
	s_waitcnt lgkmcnt(0)
	s_and_b32 s35, s35, 0xffff
	s_mov_b64 s[6:7], 0
	v_mov_b32_e32 v3, s36
	v_mov_b32_e32 v4, s37
	;; [unrolled: 1-line block ×3, first 2 shown]
.LBB42_13:                              ;   Parent Loop BB42_8 Depth=1
                                        ;     Parent Loop BB42_11 Depth=2
                                        ; =>    This Inner Loop Header: Depth=3
	v_ashrrev_i32_e32 v2, 31, v1
	v_lshlrev_b64 v[5:6], 1, v[1:2]
	v_add_u32_e32 v1, s35, v1
	v_add_co_u32_e32 v7, vcc, s33, v5
	v_addc_co_u32_e32 v8, vcc, v3, v6, vcc
	global_load_ushort v2, v[7:8], off
	v_add_co_u32_e32 v5, vcc, s34, v5
	v_addc_co_u32_e32 v6, vcc, v4, v6, vcc
	v_cmp_le_i32_e32 vcc, s19, v1
	s_or_b64 s[6:7], vcc, s[6:7]
	s_waitcnt vmcnt(0)
	global_store_short v[5:6], v2, off
	s_andn2_b64 exec, exec, s[6:7]
	s_cbranch_execnz .LBB42_13
	s_branch .LBB42_10
.LBB42_14:
	s_cmp_lg_u32 s27, 0
	s_cbranch_scc0 .LBB42_21
; %bb.15:
	s_cmp_lt_i32 s27, 1
	s_cbranch_scc1 .LBB42_21
; %bb.16:
	s_ashr_i32 s25, s24, 31
	s_lshl_b64 s[0:1], s[24:25], 2
	s_add_u32 s0, s28, s0
	s_addc_u32 s1, s29, s1
	s_load_dword s0, s[0:1], 0x0
	s_mul_i32 s2, s24, s18
	v_cmp_gt_i32_e32 vcc, s19, v0
	s_waitcnt lgkmcnt(0)
	s_ashr_i32 s1, s0, 31
	s_mul_hi_u32 s3, s10, s0
	s_mul_i32 s1, s10, s1
	s_mul_i32 s4, s11, s0
	s_add_i32 s1, s3, s1
	s_mul_i32 s0, s10, s0
	s_add_i32 s1, s1, s4
	s_lshl_b64 s[0:1], s[0:1], 1
	s_add_u32 s6, s22, s0
	s_addc_u32 s7, s23, s1
	s_ashr_i32 s0, s2, 31
	s_mul_i32 s0, s14, s0
	s_mul_hi_u32 s1, s14, s2
	s_add_i32 s0, s1, s0
	s_mul_i32 s1, s15, s2
	s_add_i32 s1, s0, s1
	s_mul_i32 s0, s14, s2
	s_lshl_b64 s[0:1], s[0:1], 1
	s_add_u32 s8, s8, s0
	s_addc_u32 s9, s9, s1
	s_mov_b32 s10, 0
	s_branch .LBB42_18
.LBB42_17:                              ;   in Loop: Header=BB42_18 Depth=1
	s_or_b64 exec, exec, s[2:3]
	s_add_i32 s10, s10, 1
	s_cmp_lg_u32 s10, s27
	s_cbranch_scc0 .LBB42_21
.LBB42_18:                              ; =>This Loop Header: Depth=1
                                        ;     Child Loop BB42_20 Depth 2
	s_and_saveexec_b64 s[2:3], vcc
	s_cbranch_execz .LBB42_17
; %bb.19:                               ;   in Loop: Header=BB42_18 Depth=1
	s_mul_i32 s0, s13, s10
	s_mul_hi_u32 s1, s12, s10
	s_add_i32 s1, s1, s0
	s_mul_i32 s0, s12, s10
	s_lshl_b64 s[0:1], s[0:1], 1
	s_add_u32 s11, s6, s0
	s_addc_u32 s18, s7, s1
	s_mul_i32 s0, s15, s10
	s_mul_hi_u32 s1, s14, s10
	s_load_dword s4, s[20:21], 0xc
	s_add_i32 s1, s1, s0
	s_mul_i32 s0, s14, s10
	s_lshl_b64 s[0:1], s[0:1], 1
	s_add_u32 s16, s8, s0
	s_addc_u32 s0, s9, s1
	s_waitcnt lgkmcnt(0)
	s_and_b32 s17, s4, 0xffff
	s_mov_b64 s[4:5], 0
	v_mov_b32_e32 v3, s18
	v_mov_b32_e32 v4, s0
	;; [unrolled: 1-line block ×3, first 2 shown]
.LBB42_20:                              ;   Parent Loop BB42_18 Depth=1
                                        ; =>  This Inner Loop Header: Depth=2
	v_ashrrev_i32_e32 v2, 31, v1
	v_lshlrev_b64 v[5:6], 1, v[1:2]
	v_add_u32_e32 v1, s17, v1
	v_add_co_u32_e64 v7, s[0:1], s11, v5
	v_addc_co_u32_e64 v8, s[0:1], v3, v6, s[0:1]
	global_load_ushort v2, v[7:8], off
	v_add_co_u32_e64 v5, s[0:1], s16, v5
	v_addc_co_u32_e64 v6, s[0:1], v4, v6, s[0:1]
	v_cmp_le_i32_e64 s[0:1], s19, v1
	s_or_b64 s[4:5], s[0:1], s[4:5]
	s_waitcnt vmcnt(0)
	global_store_short v[5:6], v2, off
	s_andn2_b64 exec, exec, s[4:5]
	s_cbranch_execnz .LBB42_20
	s_branch .LBB42_17
.LBB42_21:
	s_endpgm
	.section	.rodata,"a",@progbits
	.p2align	6, 0x0
	.amdhsa_kernel _ZN4vllm30gather_and_maybe_dequant_cacheI14__hip_bfloat16S1_LNS_18Fp8KVCacheDataTypeE0EEEvPKT0_PT_PKiS9_iillllPKfS9_
		.amdhsa_group_segment_fixed_size 0
		.amdhsa_private_segment_fixed_size 0
		.amdhsa_kernarg_size 344
		.amdhsa_user_sgpr_count 6
		.amdhsa_user_sgpr_private_segment_buffer 1
		.amdhsa_user_sgpr_dispatch_ptr 0
		.amdhsa_user_sgpr_queue_ptr 0
		.amdhsa_user_sgpr_kernarg_segment_ptr 1
		.amdhsa_user_sgpr_dispatch_id 0
		.amdhsa_user_sgpr_flat_scratch_init 0
		.amdhsa_user_sgpr_private_segment_size 0
		.amdhsa_uses_dynamic_stack 0
		.amdhsa_system_sgpr_private_segment_wavefront_offset 0
		.amdhsa_system_sgpr_workgroup_id_x 1
		.amdhsa_system_sgpr_workgroup_id_y 1
		.amdhsa_system_sgpr_workgroup_id_z 0
		.amdhsa_system_sgpr_workgroup_info 0
		.amdhsa_system_vgpr_workitem_id 0
		.amdhsa_next_free_vgpr 9
		.amdhsa_next_free_sgpr 38
		.amdhsa_reserve_vcc 1
		.amdhsa_reserve_flat_scratch 0
		.amdhsa_float_round_mode_32 0
		.amdhsa_float_round_mode_16_64 0
		.amdhsa_float_denorm_mode_32 3
		.amdhsa_float_denorm_mode_16_64 3
		.amdhsa_dx10_clamp 1
		.amdhsa_ieee_mode 1
		.amdhsa_fp16_overflow 0
		.amdhsa_exception_fp_ieee_invalid_op 0
		.amdhsa_exception_fp_denorm_src 0
		.amdhsa_exception_fp_ieee_div_zero 0
		.amdhsa_exception_fp_ieee_overflow 0
		.amdhsa_exception_fp_ieee_underflow 0
		.amdhsa_exception_fp_ieee_inexact 0
		.amdhsa_exception_int_div_zero 0
	.end_amdhsa_kernel
	.section	.text._ZN4vllm30gather_and_maybe_dequant_cacheI14__hip_bfloat16S1_LNS_18Fp8KVCacheDataTypeE0EEEvPKT0_PT_PKiS9_iillllPKfS9_,"axG",@progbits,_ZN4vllm30gather_and_maybe_dequant_cacheI14__hip_bfloat16S1_LNS_18Fp8KVCacheDataTypeE0EEEvPKT0_PT_PKiS9_iillllPKfS9_,comdat
.Lfunc_end42:
	.size	_ZN4vllm30gather_and_maybe_dequant_cacheI14__hip_bfloat16S1_LNS_18Fp8KVCacheDataTypeE0EEEvPKT0_PT_PKiS9_iillllPKfS9_, .Lfunc_end42-_ZN4vllm30gather_and_maybe_dequant_cacheI14__hip_bfloat16S1_LNS_18Fp8KVCacheDataTypeE0EEEvPKT0_PT_PKiS9_iillllPKfS9_
                                        ; -- End function
	.set _ZN4vllm30gather_and_maybe_dequant_cacheI14__hip_bfloat16S1_LNS_18Fp8KVCacheDataTypeE0EEEvPKT0_PT_PKiS9_iillllPKfS9_.num_vgpr, 9
	.set _ZN4vllm30gather_and_maybe_dequant_cacheI14__hip_bfloat16S1_LNS_18Fp8KVCacheDataTypeE0EEEvPKT0_PT_PKiS9_iillllPKfS9_.num_agpr, 0
	.set _ZN4vllm30gather_and_maybe_dequant_cacheI14__hip_bfloat16S1_LNS_18Fp8KVCacheDataTypeE0EEEvPKT0_PT_PKiS9_iillllPKfS9_.numbered_sgpr, 38
	.set _ZN4vllm30gather_and_maybe_dequant_cacheI14__hip_bfloat16S1_LNS_18Fp8KVCacheDataTypeE0EEEvPKT0_PT_PKiS9_iillllPKfS9_.num_named_barrier, 0
	.set _ZN4vllm30gather_and_maybe_dequant_cacheI14__hip_bfloat16S1_LNS_18Fp8KVCacheDataTypeE0EEEvPKT0_PT_PKiS9_iillllPKfS9_.private_seg_size, 0
	.set _ZN4vllm30gather_and_maybe_dequant_cacheI14__hip_bfloat16S1_LNS_18Fp8KVCacheDataTypeE0EEEvPKT0_PT_PKiS9_iillllPKfS9_.uses_vcc, 1
	.set _ZN4vllm30gather_and_maybe_dequant_cacheI14__hip_bfloat16S1_LNS_18Fp8KVCacheDataTypeE0EEEvPKT0_PT_PKiS9_iillllPKfS9_.uses_flat_scratch, 0
	.set _ZN4vllm30gather_and_maybe_dequant_cacheI14__hip_bfloat16S1_LNS_18Fp8KVCacheDataTypeE0EEEvPKT0_PT_PKiS9_iillllPKfS9_.has_dyn_sized_stack, 0
	.set _ZN4vllm30gather_and_maybe_dequant_cacheI14__hip_bfloat16S1_LNS_18Fp8KVCacheDataTypeE0EEEvPKT0_PT_PKiS9_iillllPKfS9_.has_recursion, 0
	.set _ZN4vllm30gather_and_maybe_dequant_cacheI14__hip_bfloat16S1_LNS_18Fp8KVCacheDataTypeE0EEEvPKT0_PT_PKiS9_iillllPKfS9_.has_indirect_call, 0
	.section	.AMDGPU.csdata,"",@progbits
; Kernel info:
; codeLenInByte = 1340
; TotalNumSgprs: 42
; NumVgprs: 9
; ScratchSize: 0
; MemoryBound: 0
; FloatMode: 240
; IeeeMode: 1
; LDSByteSize: 0 bytes/workgroup (compile time only)
; SGPRBlocks: 5
; VGPRBlocks: 2
; NumSGPRsForWavesPerEU: 42
; NumVGPRsForWavesPerEU: 9
; Occupancy: 10
; WaveLimiterHint : 1
; COMPUTE_PGM_RSRC2:SCRATCH_EN: 0
; COMPUTE_PGM_RSRC2:USER_SGPR: 6
; COMPUTE_PGM_RSRC2:TRAP_HANDLER: 0
; COMPUTE_PGM_RSRC2:TGID_X_EN: 1
; COMPUTE_PGM_RSRC2:TGID_Y_EN: 1
; COMPUTE_PGM_RSRC2:TGID_Z_EN: 0
; COMPUTE_PGM_RSRC2:TIDIG_COMP_CNT: 0
	.section	.text._ZN4vllm30gather_and_maybe_dequant_cacheIfhLNS_18Fp8KVCacheDataTypeE1EEEvPKT0_PT_PKiS8_iillllPKfS8_,"axG",@progbits,_ZN4vllm30gather_and_maybe_dequant_cacheIfhLNS_18Fp8KVCacheDataTypeE1EEEvPKT0_PT_PKiS8_iillllPKfS8_,comdat
	.protected	_ZN4vllm30gather_and_maybe_dequant_cacheIfhLNS_18Fp8KVCacheDataTypeE1EEEvPKT0_PT_PKiS8_iillllPKfS8_ ; -- Begin function _ZN4vllm30gather_and_maybe_dequant_cacheIfhLNS_18Fp8KVCacheDataTypeE1EEEvPKT0_PT_PKiS8_iillllPKfS8_
	.globl	_ZN4vllm30gather_and_maybe_dequant_cacheIfhLNS_18Fp8KVCacheDataTypeE1EEEvPKT0_PT_PKiS8_iillllPKfS8_
	.p2align	8
	.type	_ZN4vllm30gather_and_maybe_dequant_cacheIfhLNS_18Fp8KVCacheDataTypeE1EEEvPKT0_PT_PKiS8_iillllPKfS8_,@function
_ZN4vllm30gather_and_maybe_dequant_cacheIfhLNS_18Fp8KVCacheDataTypeE1EEEvPKT0_PT_PKiS8_iillllPKfS8_: ; @_ZN4vllm30gather_and_maybe_dequant_cacheIfhLNS_18Fp8KVCacheDataTypeE1EEEvPKT0_PT_PKiS8_iillllPKfS8_
; %bb.0:
	s_load_dwordx4 s[16:19], s[4:5], 0x18
	s_load_dword s1, s[4:5], 0x5c
	s_mov_b32 s0, s7
	s_mov_b32 s7, 0
	s_add_u32 s20, s4, 0x58
	s_addc_u32 s21, s5, 0
	s_lshl_b64 s[8:9], s[6:7], 2
	s_waitcnt lgkmcnt(0)
	s_add_u32 s2, s16, s8
	s_addc_u32 s3, s17, s9
	s_abs_i32 s7, s18
	v_cvt_f32_u32_e32 v1, s7
	s_load_dwordx2 s[28:29], s[2:3], 0x0
	s_sub_i32 s10, 0, s7
	s_ashr_i32 s14, s18, 31
	v_rcp_iflag_f32_e32 v1, v1
	s_waitcnt lgkmcnt(0)
	s_sub_i32 s12, s29, s28
	s_add_i32 s2, s18, s12
	v_mul_f32_e32 v1, 0x4f7ffffe, v1
	v_cvt_u32_f32_e32 v1, v1
	s_add_i32 s2, s2, -1
	s_ashr_i32 s3, s2, 31
	s_abs_i32 s2, s2
	v_readfirstlane_b32 s13, v1
	s_mul_i32 s10, s10, s13
	s_mul_hi_u32 s10, s13, s10
	s_add_i32 s13, s13, s10
	s_mul_hi_u32 s10, s2, s13
	s_mul_i32 s11, s10, s7
	s_sub_i32 s2, s2, s11
	s_xor_b32 s3, s3, s14
	s_add_i32 s11, s10, 1
	s_sub_i32 s15, s2, s7
	s_cmp_ge_u32 s2, s7
	s_cselect_b32 s10, s11, s10
	s_cselect_b32 s2, s15, s2
	s_add_i32 s11, s10, 1
	s_cmp_ge_u32 s2, s7
	s_cselect_b32 s2, s11, s10
	s_abs_i32 s10, s1
	v_cvt_f32_u32_e32 v1, s10
	s_xor_b32 s2, s2, s3
	s_sub_i32 s15, s2, s3
	s_sub_i32 s3, 0, s10
	v_rcp_iflag_f32_e32 v1, v1
	s_add_i32 s2, s1, s15
	s_add_i32 s2, s2, -1
	s_xor_b32 s1, s2, s1
	v_mul_f32_e32 v1, 0x4f7ffffe, v1
	v_cvt_u32_f32_e32 v1, v1
	s_abs_i32 s2, s2
	s_ashr_i32 s1, s1, 31
	v_readfirstlane_b32 s11, v1
	s_mul_i32 s3, s3, s11
	s_mul_hi_u32 s3, s11, s3
	s_add_i32 s11, s11, s3
	s_mul_hi_u32 s3, s2, s11
	s_mul_i32 s11, s3, s10
	s_sub_i32 s2, s2, s11
	s_add_i32 s11, s3, 1
	s_sub_i32 s16, s2, s10
	s_cmp_ge_u32 s2, s10
	s_cselect_b32 s3, s11, s3
	s_cselect_b32 s2, s16, s2
	s_add_i32 s11, s3, 1
	s_cmp_ge_u32 s2, s10
	s_cselect_b32 s2, s11, s3
	s_xor_b32 s2, s2, s1
	s_sub_i32 s23, s2, s1
	s_mul_i32 s22, s23, s0
	s_cmp_ge_i32 s22, s15
	s_cbranch_scc1 .LBB43_33
; %bb.1:
	s_load_dwordx2 s[10:11], s[4:5], 0x50
	s_load_dwordx4 s[0:3], s[4:5], 0x8
	s_mov_b64 s[30:31], 0
	s_waitcnt lgkmcnt(0)
	s_cmp_eq_u64 s[10:11], 0
	s_cbranch_scc1 .LBB43_3
; %bb.2:
	s_add_u32 s8, s10, s8
	s_addc_u32 s9, s11, s9
	s_load_dword s8, s[8:9], 0x0
	s_waitcnt lgkmcnt(0)
	s_ashr_i32 s9, s8, 31
	s_abs_i32 s8, s8
	s_mul_hi_u32 s10, s8, s13
	s_mul_i32 s11, s10, s7
	s_sub_i32 s8, s8, s11
	s_xor_b32 s9, s9, s14
	s_add_i32 s14, s10, 1
	s_sub_i32 s11, s8, s7
	s_cmp_ge_u32 s8, s7
	s_cselect_b32 s10, s14, s10
	s_cselect_b32 s8, s11, s8
	s_add_i32 s11, s10, 1
	s_cmp_ge_u32 s8, s7
	s_cselect_b32 s8, s11, s10
	s_xor_b32 s8, s8, s9
	s_sub_i32 s30, s8, s9
	s_ashr_i32 s31, s30, 31
.LBB43_3:
	s_load_dwordx2 s[16:17], s[4:5], 0x48
	s_load_dwordx2 s[24:25], s[4:5], 0x0
	s_add_i32 s8, s22, s23
	s_min_i32 s26, s8, s15
	s_cmp_gt_i32 s15, s8
	s_mov_b32 s33, 0
	s_cbranch_scc1 .LBB43_5
; %bb.4:
	s_abs_i32 s9, s12
	s_mul_hi_u32 s10, s9, s13
	s_mul_i32 s10, s10, s7
	s_sub_i32 s9, s9, s10
	s_ashr_i32 s8, s12, 31
	s_sub_i32 s10, s9, s7
	s_cmp_ge_u32 s9, s7
	s_cselect_b32 s9, s10, s9
	s_sub_i32 s10, s9, s7
	s_cmp_ge_u32 s9, s7
	s_cselect_b32 s7, s10, s9
	s_xor_b32 s7, s7, s8
	s_sub_i32 s33, s7, s8
	s_cmp_lg_u32 s33, 0
	s_cselect_b64 s[8:9], -1, 0
	s_cmp_lg_u64 s[8:9], 0
	s_subb_u32 s26, s26, 0
.LBB43_5:
	s_load_dwordx8 s[8:15], s[4:5], 0x28
	s_waitcnt lgkmcnt(0)
	s_mul_i32 s4, s6, s8
	s_ashr_i32 s5, s4, 31
	s_lshl_b64 s[4:5], s[4:5], 2
	s_add_u32 s4, s2, s4
	s_addc_u32 s5, s3, s5
	s_lshl_b64 s[2:3], s[30:31], 2
	s_add_u32 s36, s4, s2
	s_addc_u32 s37, s5, s3
	s_ashr_i32 s2, s28, 31
	s_mul_hi_u32 s6, s14, s28
	s_mul_i32 s2, s14, s2
	s_mul_i32 s7, s15, s28
	s_add_i32 s2, s6, s2
	s_add_i32 s3, s2, s7
	s_mul_i32 s2, s14, s28
	s_lshl_b64 s[2:3], s[2:3], 2
	s_add_u32 s34, s0, s2
	s_addc_u32 s35, s1, s3
	s_cmp_ge_i32 s22, s26
	s_cbranch_scc1 .LBB43_20
; %bb.6:
	s_cmp_gt_i32 s18, 0
	s_cselect_b64 s[2:3], -1, 0
	v_cndmask_b32_e64 v1, 0, 1, s[2:3]
	v_cmp_gt_i32_e64 s[0:1], s19, v0
	v_cmp_ne_u32_e64 s[2:3], 1, v1
	s_movk_i32 s27, 0x80
	s_movk_i32 s38, 0x7f
	v_bfrev_b32_e32 v4, 60
	s_branch .LBB43_8
.LBB43_7:                               ;   in Loop: Header=BB43_8 Depth=1
	s_add_i32 s22, s22, 1
	s_cmp_ge_i32 s22, s26
	s_cbranch_scc1 .LBB43_20
.LBB43_8:                               ; =>This Loop Header: Depth=1
                                        ;     Child Loop BB43_11 Depth 2
                                        ;       Child Loop BB43_16 Depth 3
	s_and_b64 vcc, exec, s[2:3]
	s_cbranch_vccnz .LBB43_7
; %bb.9:                                ;   in Loop: Header=BB43_8 Depth=1
	s_ashr_i32 s23, s22, 31
	s_lshl_b64 s[4:5], s[22:23], 2
	s_add_u32 s4, s36, s4
	s_addc_u32 s5, s37, s5
	s_load_dword s4, s[4:5], 0x0
	s_mul_i32 s6, s22, s18
	s_mov_b32 s42, 0
	s_waitcnt lgkmcnt(0)
	s_ashr_i32 s5, s4, 31
	s_mul_hi_u32 s7, s10, s4
	s_mul_i32 s5, s10, s5
	s_mul_i32 s8, s11, s4
	s_add_i32 s5, s7, s5
	s_mul_i32 s4, s10, s4
	s_add_i32 s5, s5, s8
	s_add_u32 s23, s24, s4
	s_addc_u32 s39, s25, s5
	s_ashr_i32 s4, s6, 31
	s_mul_i32 s4, s14, s4
	s_mul_hi_u32 s5, s14, s6
	s_add_i32 s4, s5, s4
	s_mul_i32 s5, s15, s6
	s_add_i32 s5, s4, s5
	s_mul_i32 s4, s14, s6
	s_lshl_b64 s[4:5], s[4:5], 2
	s_add_u32 s40, s34, s4
	s_addc_u32 s41, s35, s5
	s_branch .LBB43_11
.LBB43_10:                              ;   in Loop: Header=BB43_11 Depth=2
	s_or_b64 exec, exec, s[4:5]
	s_add_i32 s42, s42, 1
	s_cmp_eq_u32 s42, s18
	s_cbranch_scc1 .LBB43_7
.LBB43_11:                              ;   Parent Loop BB43_8 Depth=1
                                        ; =>  This Loop Header: Depth=2
                                        ;       Child Loop BB43_16 Depth 3
	s_and_saveexec_b64 s[4:5], s[0:1]
	s_cbranch_execz .LBB43_10
; %bb.12:                               ;   in Loop: Header=BB43_11 Depth=2
	s_mul_i32 s6, s13, s42
	s_mul_hi_u32 s7, s12, s42
	s_add_i32 s7, s7, s6
	s_mul_i32 s6, s12, s42
	s_add_u32 s43, s23, s6
	s_addc_u32 s8, s39, s7
	s_mul_i32 s6, s15, s42
	s_mul_hi_u32 s7, s14, s42
	s_load_dword s9, s[20:21], 0xc
	s_add_i32 s7, s7, s6
	s_mul_i32 s6, s14, s42
	s_load_dword s45, s[16:17], 0x0
	s_lshl_b64 s[6:7], s[6:7], 2
	s_add_u32 s44, s40, s6
	s_addc_u32 s28, s41, s7
	s_waitcnt lgkmcnt(0)
	s_and_b32 s46, s9, 0xffff
	s_mov_b64 s[6:7], 0
	v_mov_b32_e32 v5, s8
	v_mov_b32_e32 v6, s28
	;; [unrolled: 1-line block ×3, first 2 shown]
	s_branch .LBB43_16
.LBB43_13:                              ;   in Loop: Header=BB43_16 Depth=3
	s_or_b64 exec, exec, s[30:31]
.LBB43_14:                              ;   in Loop: Header=BB43_16 Depth=3
	s_or_b64 exec, exec, s[28:29]
.LBB43_15:                              ;   in Loop: Header=BB43_16 Depth=3
	s_or_b64 exec, exec, s[8:9]
	v_lshlrev_b64 v[2:3], 2, v[1:2]
	v_add_u32_e32 v1, s46, v1
	v_add_co_u32_e32 v2, vcc, s44, v2
	v_addc_co_u32_e32 v3, vcc, v6, v3, vcc
	v_cmp_le_i32_e32 vcc, s19, v1
	v_mul_f32_e32 v7, s45, v8
	s_or_b64 s[6:7], vcc, s[6:7]
	global_store_dword v[2:3], v7, off
	s_andn2_b64 exec, exec, s[6:7]
	s_cbranch_execz .LBB43_10
.LBB43_16:                              ;   Parent Loop BB43_8 Depth=1
                                        ;     Parent Loop BB43_11 Depth=2
                                        ; =>    This Inner Loop Header: Depth=3
	v_ashrrev_i32_e32 v2, 31, v1
	v_add_co_u32_e32 v7, vcc, s43, v1
	v_addc_co_u32_e32 v8, vcc, v5, v2, vcc
	global_load_ubyte v7, v[7:8], off
	v_mov_b32_e32 v8, 0
	s_waitcnt vmcnt(0)
	v_cmp_ne_u16_e32 vcc, 0, v7
	s_and_saveexec_b64 s[8:9], vcc
	s_cbranch_execz .LBB43_15
; %bb.17:                               ;   in Loop: Header=BB43_16 Depth=3
	v_cmp_ne_u16_e32 vcc, s27, v7
	v_bfrev_b32_e32 v8, 1
	s_and_saveexec_b64 s[28:29], vcc
	s_cbranch_execz .LBB43_14
; %bb.18:                               ;   in Loop: Header=BB43_16 Depth=3
	v_and_b32_e32 v3, 0xffff, v7
	v_and_b32_e32 v9, 0x7f, v3
	v_cmp_ne_u32_e32 vcc, s38, v9
	v_mov_b32_e32 v8, 0x7f800001
	s_and_saveexec_b64 s[30:31], vcc
	s_cbranch_execz .LBB43_13
; %bb.19:                               ;   in Loop: Header=BB43_16 Depth=3
	v_and_b32_e32 v8, 7, v3
	v_ffbh_u32_e32 v10, v8
	v_min_u32_e32 v13, 32, v10
	v_subrev_u32_e32 v10, 28, v13
	v_lshlrev_b64 v[10:11], v10, v[3:4]
	v_lshrrev_b32_e32 v12, 3, v9
	v_sub_u32_e32 v3, 29, v13
	v_and_b32_e32 v10, 7, v10
	v_cmp_gt_u32_e32 vcc, 8, v9
	v_cndmask_b32_e32 v3, v12, v3, vcc
	v_cndmask_b32_e32 v8, v8, v10, vcc
	v_lshlrev_b32_e32 v7, 24, v7
	v_lshlrev_b32_e32 v8, 20, v8
	v_and_b32_e32 v7, 0x80000000, v7
	v_lshl_add_u32 v3, v3, 23, v4
	v_or3_b32 v8, v7, v3, v8
	s_branch .LBB43_13
.LBB43_20:
	s_cmp_lg_u32 s33, 0
	s_cbranch_scc0 .LBB43_33
; %bb.21:
	s_cmp_lt_i32 s33, 1
	s_cbranch_scc1 .LBB43_33
; %bb.22:
	s_ashr_i32 s27, s26, 31
	s_lshl_b64 s[0:1], s[26:27], 2
	s_add_u32 s0, s36, s0
	s_addc_u32 s1, s37, s1
	s_load_dword s0, s[0:1], 0x0
	s_mul_i32 s2, s26, s18
	v_cmp_gt_i32_e32 vcc, s19, v0
	s_movk_i32 s26, 0x80
	s_movk_i32 s27, 0x7f
	s_waitcnt lgkmcnt(0)
	s_ashr_i32 s1, s0, 31
	s_mul_hi_u32 s3, s10, s0
	s_mul_i32 s1, s10, s1
	s_mul_i32 s4, s11, s0
	s_add_i32 s1, s3, s1
	s_mul_i32 s0, s10, s0
	s_add_i32 s1, s1, s4
	s_add_u32 s18, s24, s0
	s_addc_u32 s22, s25, s1
	s_ashr_i32 s0, s2, 31
	s_mul_i32 s0, s14, s0
	s_mul_hi_u32 s1, s14, s2
	s_add_i32 s0, s1, s0
	s_mul_i32 s1, s15, s2
	s_add_i32 s1, s0, s1
	s_mul_i32 s0, s14, s2
	s_lshl_b64 s[0:1], s[0:1], 2
	s_add_u32 s23, s34, s0
	s_addc_u32 s24, s35, s1
	s_mov_b32 s25, 0
	v_bfrev_b32_e32 v4, 60
	s_branch .LBB43_24
.LBB43_23:                              ;   in Loop: Header=BB43_24 Depth=1
	s_or_b64 exec, exec, s[2:3]
	s_add_i32 s25, s25, 1
	s_cmp_lg_u32 s25, s33
	s_cbranch_scc0 .LBB43_33
.LBB43_24:                              ; =>This Loop Header: Depth=1
                                        ;     Child Loop BB43_29 Depth 2
	s_and_saveexec_b64 s[2:3], vcc
	s_cbranch_execz .LBB43_23
; %bb.25:                               ;   in Loop: Header=BB43_24 Depth=1
	s_mul_i32 s0, s13, s25
	s_mul_hi_u32 s1, s12, s25
	s_add_i32 s1, s1, s0
	s_mul_i32 s0, s12, s25
	s_add_u32 s28, s18, s0
	s_addc_u32 s6, s22, s1
	s_mul_i32 s0, s15, s25
	s_mul_hi_u32 s1, s14, s25
	s_load_dword s4, s[20:21], 0xc
	s_add_i32 s1, s1, s0
	s_mul_i32 s0, s14, s25
	s_load_dword s30, s[16:17], 0x0
	s_lshl_b64 s[0:1], s[0:1], 2
	s_add_u32 s29, s23, s0
	s_addc_u32 s0, s24, s1
	s_waitcnt lgkmcnt(0)
	s_and_b32 s31, s4, 0xffff
	s_mov_b64 s[4:5], 0
	v_mov_b32_e32 v5, s6
	v_mov_b32_e32 v6, s0
	;; [unrolled: 1-line block ×3, first 2 shown]
	s_branch .LBB43_29
.LBB43_26:                              ;   in Loop: Header=BB43_29 Depth=2
	s_or_b64 exec, exec, s[10:11]
.LBB43_27:                              ;   in Loop: Header=BB43_29 Depth=2
	s_or_b64 exec, exec, s[8:9]
.LBB43_28:                              ;   in Loop: Header=BB43_29 Depth=2
	s_or_b64 exec, exec, s[6:7]
	v_lshlrev_b64 v[2:3], 2, v[1:2]
	v_add_u32_e32 v1, s31, v1
	v_add_co_u32_e64 v2, s[0:1], s29, v2
	v_addc_co_u32_e64 v3, s[0:1], v6, v3, s[0:1]
	v_cmp_le_i32_e64 s[0:1], s19, v1
	v_mul_f32_e32 v7, s30, v8
	s_or_b64 s[4:5], s[0:1], s[4:5]
	global_store_dword v[2:3], v7, off
	s_andn2_b64 exec, exec, s[4:5]
	s_cbranch_execz .LBB43_23
.LBB43_29:                              ;   Parent Loop BB43_24 Depth=1
                                        ; =>  This Inner Loop Header: Depth=2
	v_ashrrev_i32_e32 v2, 31, v1
	v_add_co_u32_e64 v7, s[0:1], s28, v1
	v_addc_co_u32_e64 v8, s[0:1], v5, v2, s[0:1]
	global_load_ubyte v7, v[7:8], off
	v_mov_b32_e32 v8, 0
	s_waitcnt vmcnt(0)
	v_cmp_ne_u16_e64 s[0:1], 0, v7
	s_and_saveexec_b64 s[6:7], s[0:1]
	s_cbranch_execz .LBB43_28
; %bb.30:                               ;   in Loop: Header=BB43_29 Depth=2
	v_cmp_ne_u16_e64 s[0:1], s26, v7
	v_bfrev_b32_e32 v8, 1
	s_and_saveexec_b64 s[8:9], s[0:1]
	s_cbranch_execz .LBB43_27
; %bb.31:                               ;   in Loop: Header=BB43_29 Depth=2
	v_and_b32_e32 v3, 0xffff, v7
	v_and_b32_e32 v9, 0x7f, v3
	v_cmp_ne_u32_e64 s[0:1], s27, v9
	v_mov_b32_e32 v8, 0x7f800001
	s_and_saveexec_b64 s[10:11], s[0:1]
	s_cbranch_execz .LBB43_26
; %bb.32:                               ;   in Loop: Header=BB43_29 Depth=2
	v_and_b32_e32 v8, 7, v3
	v_ffbh_u32_e32 v10, v8
	v_min_u32_e32 v13, 32, v10
	v_subrev_u32_e32 v10, 28, v13
	v_lshlrev_b64 v[10:11], v10, v[3:4]
	v_lshrrev_b32_e32 v12, 3, v9
	v_sub_u32_e32 v3, 29, v13
	v_and_b32_e32 v10, 7, v10
	v_cmp_gt_u32_e64 s[0:1], 8, v9
	v_cndmask_b32_e64 v3, v12, v3, s[0:1]
	v_cndmask_b32_e64 v8, v8, v10, s[0:1]
	v_lshlrev_b32_e32 v7, 24, v7
	v_lshlrev_b32_e32 v8, 20, v8
	v_and_b32_e32 v7, 0x80000000, v7
	v_lshl_add_u32 v3, v3, 23, v4
	v_or3_b32 v8, v7, v3, v8
	s_branch .LBB43_26
.LBB43_33:
	s_endpgm
	.section	.rodata,"a",@progbits
	.p2align	6, 0x0
	.amdhsa_kernel _ZN4vllm30gather_and_maybe_dequant_cacheIfhLNS_18Fp8KVCacheDataTypeE1EEEvPKT0_PT_PKiS8_iillllPKfS8_
		.amdhsa_group_segment_fixed_size 0
		.amdhsa_private_segment_fixed_size 0
		.amdhsa_kernarg_size 344
		.amdhsa_user_sgpr_count 6
		.amdhsa_user_sgpr_private_segment_buffer 1
		.amdhsa_user_sgpr_dispatch_ptr 0
		.amdhsa_user_sgpr_queue_ptr 0
		.amdhsa_user_sgpr_kernarg_segment_ptr 1
		.amdhsa_user_sgpr_dispatch_id 0
		.amdhsa_user_sgpr_flat_scratch_init 0
		.amdhsa_user_sgpr_private_segment_size 0
		.amdhsa_uses_dynamic_stack 0
		.amdhsa_system_sgpr_private_segment_wavefront_offset 0
		.amdhsa_system_sgpr_workgroup_id_x 1
		.amdhsa_system_sgpr_workgroup_id_y 1
		.amdhsa_system_sgpr_workgroup_id_z 0
		.amdhsa_system_sgpr_workgroup_info 0
		.amdhsa_system_vgpr_workitem_id 0
		.amdhsa_next_free_vgpr 14
		.amdhsa_next_free_sgpr 47
		.amdhsa_reserve_vcc 1
		.amdhsa_reserve_flat_scratch 0
		.amdhsa_float_round_mode_32 0
		.amdhsa_float_round_mode_16_64 0
		.amdhsa_float_denorm_mode_32 3
		.amdhsa_float_denorm_mode_16_64 3
		.amdhsa_dx10_clamp 1
		.amdhsa_ieee_mode 1
		.amdhsa_fp16_overflow 0
		.amdhsa_exception_fp_ieee_invalid_op 0
		.amdhsa_exception_fp_denorm_src 0
		.amdhsa_exception_fp_ieee_div_zero 0
		.amdhsa_exception_fp_ieee_overflow 0
		.amdhsa_exception_fp_ieee_underflow 0
		.amdhsa_exception_fp_ieee_inexact 0
		.amdhsa_exception_int_div_zero 0
	.end_amdhsa_kernel
	.section	.text._ZN4vllm30gather_and_maybe_dequant_cacheIfhLNS_18Fp8KVCacheDataTypeE1EEEvPKT0_PT_PKiS8_iillllPKfS8_,"axG",@progbits,_ZN4vllm30gather_and_maybe_dequant_cacheIfhLNS_18Fp8KVCacheDataTypeE1EEEvPKT0_PT_PKiS8_iillllPKfS8_,comdat
.Lfunc_end43:
	.size	_ZN4vllm30gather_and_maybe_dequant_cacheIfhLNS_18Fp8KVCacheDataTypeE1EEEvPKT0_PT_PKiS8_iillllPKfS8_, .Lfunc_end43-_ZN4vllm30gather_and_maybe_dequant_cacheIfhLNS_18Fp8KVCacheDataTypeE1EEEvPKT0_PT_PKiS8_iillllPKfS8_
                                        ; -- End function
	.set _ZN4vllm30gather_and_maybe_dequant_cacheIfhLNS_18Fp8KVCacheDataTypeE1EEEvPKT0_PT_PKiS8_iillllPKfS8_.num_vgpr, 14
	.set _ZN4vllm30gather_and_maybe_dequant_cacheIfhLNS_18Fp8KVCacheDataTypeE1EEEvPKT0_PT_PKiS8_iillllPKfS8_.num_agpr, 0
	.set _ZN4vllm30gather_and_maybe_dequant_cacheIfhLNS_18Fp8KVCacheDataTypeE1EEEvPKT0_PT_PKiS8_iillllPKfS8_.numbered_sgpr, 47
	.set _ZN4vllm30gather_and_maybe_dequant_cacheIfhLNS_18Fp8KVCacheDataTypeE1EEEvPKT0_PT_PKiS8_iillllPKfS8_.num_named_barrier, 0
	.set _ZN4vllm30gather_and_maybe_dequant_cacheIfhLNS_18Fp8KVCacheDataTypeE1EEEvPKT0_PT_PKiS8_iillllPKfS8_.private_seg_size, 0
	.set _ZN4vllm30gather_and_maybe_dequant_cacheIfhLNS_18Fp8KVCacheDataTypeE1EEEvPKT0_PT_PKiS8_iillllPKfS8_.uses_vcc, 1
	.set _ZN4vllm30gather_and_maybe_dequant_cacheIfhLNS_18Fp8KVCacheDataTypeE1EEEvPKT0_PT_PKiS8_iillllPKfS8_.uses_flat_scratch, 0
	.set _ZN4vllm30gather_and_maybe_dequant_cacheIfhLNS_18Fp8KVCacheDataTypeE1EEEvPKT0_PT_PKiS8_iillllPKfS8_.has_dyn_sized_stack, 0
	.set _ZN4vllm30gather_and_maybe_dequant_cacheIfhLNS_18Fp8KVCacheDataTypeE1EEEvPKT0_PT_PKiS8_iillllPKfS8_.has_recursion, 0
	.set _ZN4vllm30gather_and_maybe_dequant_cacheIfhLNS_18Fp8KVCacheDataTypeE1EEEvPKT0_PT_PKiS8_iillllPKfS8_.has_indirect_call, 0
	.section	.AMDGPU.csdata,"",@progbits
; Kernel info:
; codeLenInByte = 1732
; TotalNumSgprs: 51
; NumVgprs: 14
; ScratchSize: 0
; MemoryBound: 0
; FloatMode: 240
; IeeeMode: 1
; LDSByteSize: 0 bytes/workgroup (compile time only)
; SGPRBlocks: 6
; VGPRBlocks: 3
; NumSGPRsForWavesPerEU: 51
; NumVGPRsForWavesPerEU: 14
; Occupancy: 10
; WaveLimiterHint : 1
; COMPUTE_PGM_RSRC2:SCRATCH_EN: 0
; COMPUTE_PGM_RSRC2:USER_SGPR: 6
; COMPUTE_PGM_RSRC2:TRAP_HANDLER: 0
; COMPUTE_PGM_RSRC2:TGID_X_EN: 1
; COMPUTE_PGM_RSRC2:TGID_Y_EN: 1
; COMPUTE_PGM_RSRC2:TGID_Z_EN: 0
; COMPUTE_PGM_RSRC2:TIDIG_COMP_CNT: 0
	.section	.text._ZN4vllm30gather_and_maybe_dequant_cacheIthLNS_18Fp8KVCacheDataTypeE1EEEvPKT0_PT_PKiS8_iillllPKfS8_,"axG",@progbits,_ZN4vllm30gather_and_maybe_dequant_cacheIthLNS_18Fp8KVCacheDataTypeE1EEEvPKT0_PT_PKiS8_iillllPKfS8_,comdat
	.protected	_ZN4vllm30gather_and_maybe_dequant_cacheIthLNS_18Fp8KVCacheDataTypeE1EEEvPKT0_PT_PKiS8_iillllPKfS8_ ; -- Begin function _ZN4vllm30gather_and_maybe_dequant_cacheIthLNS_18Fp8KVCacheDataTypeE1EEEvPKT0_PT_PKiS8_iillllPKfS8_
	.globl	_ZN4vllm30gather_and_maybe_dequant_cacheIthLNS_18Fp8KVCacheDataTypeE1EEEvPKT0_PT_PKiS8_iillllPKfS8_
	.p2align	8
	.type	_ZN4vllm30gather_and_maybe_dequant_cacheIthLNS_18Fp8KVCacheDataTypeE1EEEvPKT0_PT_PKiS8_iillllPKfS8_,@function
_ZN4vllm30gather_and_maybe_dequant_cacheIthLNS_18Fp8KVCacheDataTypeE1EEEvPKT0_PT_PKiS8_iillllPKfS8_: ; @_ZN4vllm30gather_and_maybe_dequant_cacheIthLNS_18Fp8KVCacheDataTypeE1EEEvPKT0_PT_PKiS8_iillllPKfS8_
; %bb.0:
	s_load_dwordx4 s[16:19], s[4:5], 0x18
	s_load_dword s1, s[4:5], 0x5c
	s_mov_b32 s0, s7
	s_mov_b32 s7, 0
	s_add_u32 s20, s4, 0x58
	s_addc_u32 s21, s5, 0
	s_lshl_b64 s[8:9], s[6:7], 2
	s_waitcnt lgkmcnt(0)
	s_add_u32 s2, s16, s8
	s_addc_u32 s3, s17, s9
	s_abs_i32 s7, s18
	v_cvt_f32_u32_e32 v1, s7
	s_load_dwordx2 s[28:29], s[2:3], 0x0
	s_sub_i32 s10, 0, s7
	s_ashr_i32 s14, s18, 31
	v_rcp_iflag_f32_e32 v1, v1
	s_waitcnt lgkmcnt(0)
	s_sub_i32 s12, s29, s28
	s_add_i32 s2, s18, s12
	v_mul_f32_e32 v1, 0x4f7ffffe, v1
	v_cvt_u32_f32_e32 v1, v1
	s_add_i32 s2, s2, -1
	s_ashr_i32 s3, s2, 31
	s_abs_i32 s2, s2
	v_readfirstlane_b32 s13, v1
	s_mul_i32 s10, s10, s13
	s_mul_hi_u32 s10, s13, s10
	s_add_i32 s13, s13, s10
	s_mul_hi_u32 s10, s2, s13
	s_mul_i32 s11, s10, s7
	s_sub_i32 s2, s2, s11
	s_xor_b32 s3, s3, s14
	s_add_i32 s11, s10, 1
	s_sub_i32 s15, s2, s7
	s_cmp_ge_u32 s2, s7
	s_cselect_b32 s10, s11, s10
	s_cselect_b32 s2, s15, s2
	s_add_i32 s11, s10, 1
	s_cmp_ge_u32 s2, s7
	s_cselect_b32 s2, s11, s10
	s_abs_i32 s10, s1
	v_cvt_f32_u32_e32 v1, s10
	s_xor_b32 s2, s2, s3
	s_sub_i32 s15, s2, s3
	s_sub_i32 s3, 0, s10
	v_rcp_iflag_f32_e32 v1, v1
	s_add_i32 s2, s1, s15
	s_add_i32 s2, s2, -1
	s_xor_b32 s1, s2, s1
	v_mul_f32_e32 v1, 0x4f7ffffe, v1
	v_cvt_u32_f32_e32 v1, v1
	s_abs_i32 s2, s2
	s_ashr_i32 s1, s1, 31
	v_readfirstlane_b32 s11, v1
	s_mul_i32 s3, s3, s11
	s_mul_hi_u32 s3, s11, s3
	s_add_i32 s11, s11, s3
	s_mul_hi_u32 s3, s2, s11
	s_mul_i32 s11, s3, s10
	s_sub_i32 s2, s2, s11
	s_add_i32 s11, s3, 1
	s_sub_i32 s16, s2, s10
	s_cmp_ge_u32 s2, s10
	s_cselect_b32 s3, s11, s3
	s_cselect_b32 s2, s16, s2
	s_add_i32 s11, s3, 1
	s_cmp_ge_u32 s2, s10
	s_cselect_b32 s2, s11, s3
	s_xor_b32 s2, s2, s1
	s_sub_i32 s23, s2, s1
	s_mul_i32 s22, s23, s0
	s_cmp_ge_i32 s22, s15
	s_cbranch_scc1 .LBB44_33
; %bb.1:
	s_load_dwordx2 s[10:11], s[4:5], 0x50
	s_load_dwordx4 s[0:3], s[4:5], 0x8
	s_mov_b64 s[30:31], 0
	s_waitcnt lgkmcnt(0)
	s_cmp_eq_u64 s[10:11], 0
	s_cbranch_scc1 .LBB44_3
; %bb.2:
	s_add_u32 s8, s10, s8
	s_addc_u32 s9, s11, s9
	s_load_dword s8, s[8:9], 0x0
	s_waitcnt lgkmcnt(0)
	s_ashr_i32 s9, s8, 31
	s_abs_i32 s8, s8
	s_mul_hi_u32 s10, s8, s13
	s_mul_i32 s11, s10, s7
	s_sub_i32 s8, s8, s11
	s_xor_b32 s9, s9, s14
	s_add_i32 s14, s10, 1
	s_sub_i32 s11, s8, s7
	s_cmp_ge_u32 s8, s7
	s_cselect_b32 s10, s14, s10
	s_cselect_b32 s8, s11, s8
	s_add_i32 s11, s10, 1
	s_cmp_ge_u32 s8, s7
	s_cselect_b32 s8, s11, s10
	s_xor_b32 s8, s8, s9
	s_sub_i32 s30, s8, s9
	s_ashr_i32 s31, s30, 31
.LBB44_3:
	s_load_dwordx2 s[16:17], s[4:5], 0x48
	s_load_dwordx2 s[24:25], s[4:5], 0x0
	s_add_i32 s8, s22, s23
	s_min_i32 s26, s8, s15
	s_cmp_gt_i32 s15, s8
	s_mov_b32 s33, 0
	s_cbranch_scc1 .LBB44_5
; %bb.4:
	s_abs_i32 s9, s12
	s_mul_hi_u32 s10, s9, s13
	s_mul_i32 s10, s10, s7
	s_sub_i32 s9, s9, s10
	s_ashr_i32 s8, s12, 31
	s_sub_i32 s10, s9, s7
	s_cmp_ge_u32 s9, s7
	s_cselect_b32 s9, s10, s9
	s_sub_i32 s10, s9, s7
	s_cmp_ge_u32 s9, s7
	s_cselect_b32 s7, s10, s9
	s_xor_b32 s7, s7, s8
	s_sub_i32 s33, s7, s8
	s_cmp_lg_u32 s33, 0
	s_cselect_b64 s[8:9], -1, 0
	s_cmp_lg_u64 s[8:9], 0
	s_subb_u32 s26, s26, 0
.LBB44_5:
	s_load_dwordx8 s[8:15], s[4:5], 0x28
	s_waitcnt lgkmcnt(0)
	s_mul_i32 s4, s6, s8
	s_ashr_i32 s5, s4, 31
	s_lshl_b64 s[4:5], s[4:5], 2
	s_add_u32 s4, s2, s4
	s_addc_u32 s5, s3, s5
	s_lshl_b64 s[2:3], s[30:31], 2
	s_add_u32 s36, s4, s2
	s_addc_u32 s37, s5, s3
	s_ashr_i32 s2, s28, 31
	s_mul_hi_u32 s6, s14, s28
	s_mul_i32 s2, s14, s2
	s_mul_i32 s7, s15, s28
	s_add_i32 s2, s6, s2
	s_add_i32 s3, s2, s7
	s_mul_i32 s2, s14, s28
	s_lshl_b64 s[2:3], s[2:3], 1
	s_add_u32 s34, s0, s2
	s_addc_u32 s35, s1, s3
	s_cmp_ge_i32 s22, s26
	s_cbranch_scc1 .LBB44_20
; %bb.6:
	s_cmp_gt_i32 s18, 0
	s_cselect_b64 s[2:3], -1, 0
	v_cndmask_b32_e64 v1, 0, 1, s[2:3]
	v_cmp_gt_i32_e64 s[0:1], s19, v0
	v_cmp_ne_u32_e64 s[2:3], 1, v1
	s_movk_i32 s27, 0x80
	s_movk_i32 s38, 0x7f
	v_bfrev_b32_e32 v4, 60
	s_branch .LBB44_8
.LBB44_7:                               ;   in Loop: Header=BB44_8 Depth=1
	s_add_i32 s22, s22, 1
	s_cmp_ge_i32 s22, s26
	s_cbranch_scc1 .LBB44_20
.LBB44_8:                               ; =>This Loop Header: Depth=1
                                        ;     Child Loop BB44_11 Depth 2
                                        ;       Child Loop BB44_16 Depth 3
	s_and_b64 vcc, exec, s[2:3]
	s_cbranch_vccnz .LBB44_7
; %bb.9:                                ;   in Loop: Header=BB44_8 Depth=1
	s_ashr_i32 s23, s22, 31
	s_lshl_b64 s[4:5], s[22:23], 2
	s_add_u32 s4, s36, s4
	s_addc_u32 s5, s37, s5
	s_load_dword s4, s[4:5], 0x0
	s_mul_i32 s6, s22, s18
	s_mov_b32 s42, 0
	s_waitcnt lgkmcnt(0)
	s_ashr_i32 s5, s4, 31
	s_mul_hi_u32 s7, s10, s4
	s_mul_i32 s5, s10, s5
	s_mul_i32 s8, s11, s4
	s_add_i32 s5, s7, s5
	s_mul_i32 s4, s10, s4
	s_add_i32 s5, s5, s8
	s_add_u32 s23, s24, s4
	s_addc_u32 s39, s25, s5
	s_ashr_i32 s4, s6, 31
	s_mul_i32 s4, s14, s4
	s_mul_hi_u32 s5, s14, s6
	s_add_i32 s4, s5, s4
	s_mul_i32 s5, s15, s6
	s_add_i32 s5, s4, s5
	s_mul_i32 s4, s14, s6
	s_lshl_b64 s[4:5], s[4:5], 1
	s_add_u32 s40, s34, s4
	s_addc_u32 s41, s35, s5
	s_branch .LBB44_11
.LBB44_10:                              ;   in Loop: Header=BB44_11 Depth=2
	s_or_b64 exec, exec, s[4:5]
	s_add_i32 s42, s42, 1
	s_cmp_eq_u32 s42, s18
	s_cbranch_scc1 .LBB44_7
.LBB44_11:                              ;   Parent Loop BB44_8 Depth=1
                                        ; =>  This Loop Header: Depth=2
                                        ;       Child Loop BB44_16 Depth 3
	s_and_saveexec_b64 s[4:5], s[0:1]
	s_cbranch_execz .LBB44_10
; %bb.12:                               ;   in Loop: Header=BB44_11 Depth=2
	s_mul_i32 s6, s13, s42
	s_mul_hi_u32 s7, s12, s42
	s_add_i32 s7, s7, s6
	s_mul_i32 s6, s12, s42
	s_add_u32 s43, s23, s6
	s_load_dword s9, s[20:21], 0xc
	s_addc_u32 s8, s39, s7
	s_mul_i32 s6, s15, s42
	s_mul_hi_u32 s7, s14, s42
	s_load_dword s46, s[16:17], 0x0
	s_add_i32 s7, s7, s6
	s_mul_i32 s6, s14, s42
	s_lshl_b64 s[6:7], s[6:7], 1
	s_add_u32 s44, s40, s6
	s_addc_u32 s45, s41, s7
	s_waitcnt lgkmcnt(0)
	s_and_b32 s47, s9, 0xffff
	s_mov_b64 s[6:7], 0
	v_mov_b32_e32 v5, s8
	v_mov_b32_e32 v1, v0
	s_branch .LBB44_16
.LBB44_13:                              ;   in Loop: Header=BB44_16 Depth=3
	s_or_b64 exec, exec, s[30:31]
.LBB44_14:                              ;   in Loop: Header=BB44_16 Depth=3
	s_or_b64 exec, exec, s[28:29]
.LBB44_15:                              ;   in Loop: Header=BB44_16 Depth=3
	s_or_b64 exec, exec, s[8:9]
	v_lshlrev_b64 v[2:3], 1, v[1:2]
	v_fma_mixlo_f16 v6, s46, v7, 0
	v_mov_b32_e32 v7, s45
	v_add_co_u32_e32 v2, vcc, s44, v2
	v_addc_co_u32_e32 v3, vcc, v7, v3, vcc
	v_add_u32_e32 v1, s47, v1
	v_cmp_le_i32_e32 vcc, s19, v1
	s_or_b64 s[6:7], vcc, s[6:7]
	global_store_short v[2:3], v6, off
	s_andn2_b64 exec, exec, s[6:7]
	s_cbranch_execz .LBB44_10
.LBB44_16:                              ;   Parent Loop BB44_8 Depth=1
                                        ;     Parent Loop BB44_11 Depth=2
                                        ; =>    This Inner Loop Header: Depth=3
	v_ashrrev_i32_e32 v2, 31, v1
	v_add_co_u32_e32 v6, vcc, s43, v1
	v_addc_co_u32_e32 v7, vcc, v5, v2, vcc
	global_load_ubyte v6, v[6:7], off
	v_mov_b32_e32 v7, 0
	s_waitcnt vmcnt(0)
	v_cmp_ne_u16_e32 vcc, 0, v6
	s_and_saveexec_b64 s[8:9], vcc
	s_cbranch_execz .LBB44_15
; %bb.17:                               ;   in Loop: Header=BB44_16 Depth=3
	v_cmp_ne_u16_e32 vcc, s27, v6
	v_bfrev_b32_e32 v7, 1
	s_and_saveexec_b64 s[28:29], vcc
	s_cbranch_execz .LBB44_14
; %bb.18:                               ;   in Loop: Header=BB44_16 Depth=3
	v_and_b32_e32 v3, 0xffff, v6
	v_and_b32_e32 v8, 0x7f, v3
	v_cmp_ne_u32_e32 vcc, s38, v8
	v_mov_b32_e32 v7, 0x7f800001
	s_and_saveexec_b64 s[30:31], vcc
	s_cbranch_execz .LBB44_13
; %bb.19:                               ;   in Loop: Header=BB44_16 Depth=3
	v_and_b32_e32 v7, 7, v3
	v_ffbh_u32_e32 v9, v7
	v_min_u32_e32 v12, 32, v9
	v_subrev_u32_e32 v9, 28, v12
	v_lshlrev_b64 v[9:10], v9, v[3:4]
	v_lshrrev_b32_e32 v11, 3, v8
	v_sub_u32_e32 v3, 29, v12
	v_and_b32_e32 v9, 7, v9
	v_cmp_gt_u32_e32 vcc, 8, v8
	v_cndmask_b32_e32 v3, v11, v3, vcc
	v_cndmask_b32_e32 v7, v7, v9, vcc
	v_lshlrev_b32_e32 v6, 24, v6
	v_lshlrev_b32_e32 v7, 20, v7
	v_and_b32_e32 v6, 0x80000000, v6
	v_lshl_add_u32 v3, v3, 23, v4
	v_or3_b32 v7, v6, v3, v7
	s_branch .LBB44_13
.LBB44_20:
	s_cmp_lg_u32 s33, 0
	s_cbranch_scc0 .LBB44_33
; %bb.21:
	s_cmp_lt_i32 s33, 1
	s_cbranch_scc1 .LBB44_33
; %bb.22:
	s_ashr_i32 s27, s26, 31
	s_lshl_b64 s[0:1], s[26:27], 2
	s_add_u32 s0, s36, s0
	s_addc_u32 s1, s37, s1
	s_load_dword s0, s[0:1], 0x0
	s_mul_i32 s2, s26, s18
	v_cmp_gt_i32_e32 vcc, s19, v0
	s_movk_i32 s26, 0x80
	s_movk_i32 s27, 0x7f
	s_waitcnt lgkmcnt(0)
	s_ashr_i32 s1, s0, 31
	s_mul_hi_u32 s3, s10, s0
	s_mul_i32 s1, s10, s1
	s_mul_i32 s4, s11, s0
	s_add_i32 s1, s3, s1
	s_mul_i32 s0, s10, s0
	s_add_i32 s1, s1, s4
	s_add_u32 s18, s24, s0
	s_addc_u32 s22, s25, s1
	s_ashr_i32 s0, s2, 31
	s_mul_i32 s0, s14, s0
	s_mul_hi_u32 s1, s14, s2
	s_add_i32 s0, s1, s0
	s_mul_i32 s1, s15, s2
	s_add_i32 s1, s0, s1
	s_mul_i32 s0, s14, s2
	s_lshl_b64 s[0:1], s[0:1], 1
	s_add_u32 s23, s34, s0
	s_addc_u32 s24, s35, s1
	s_mov_b32 s25, 0
	v_bfrev_b32_e32 v4, 60
	s_branch .LBB44_24
.LBB44_23:                              ;   in Loop: Header=BB44_24 Depth=1
	s_or_b64 exec, exec, s[2:3]
	s_add_i32 s25, s25, 1
	s_cmp_lg_u32 s25, s33
	s_cbranch_scc0 .LBB44_33
.LBB44_24:                              ; =>This Loop Header: Depth=1
                                        ;     Child Loop BB44_29 Depth 2
	s_and_saveexec_b64 s[2:3], vcc
	s_cbranch_execz .LBB44_23
; %bb.25:                               ;   in Loop: Header=BB44_24 Depth=1
	s_mul_i32 s0, s13, s25
	s_mul_hi_u32 s1, s12, s25
	s_add_i32 s1, s1, s0
	s_mul_i32 s0, s12, s25
	s_add_u32 s28, s18, s0
	s_load_dword s4, s[20:21], 0xc
	s_addc_u32 s6, s22, s1
	s_mul_i32 s0, s15, s25
	s_mul_hi_u32 s1, s14, s25
	s_load_dword s31, s[16:17], 0x0
	s_add_i32 s1, s1, s0
	s_mul_i32 s0, s14, s25
	s_lshl_b64 s[0:1], s[0:1], 1
	s_add_u32 s29, s23, s0
	s_addc_u32 s30, s24, s1
	s_waitcnt lgkmcnt(0)
	s_and_b32 s34, s4, 0xffff
	s_mov_b64 s[4:5], 0
	v_mov_b32_e32 v5, s6
	v_mov_b32_e32 v1, v0
	s_branch .LBB44_29
.LBB44_26:                              ;   in Loop: Header=BB44_29 Depth=2
	s_or_b64 exec, exec, s[10:11]
.LBB44_27:                              ;   in Loop: Header=BB44_29 Depth=2
	s_or_b64 exec, exec, s[8:9]
.LBB44_28:                              ;   in Loop: Header=BB44_29 Depth=2
	s_or_b64 exec, exec, s[6:7]
	v_lshlrev_b64 v[2:3], 1, v[1:2]
	v_fma_mixlo_f16 v6, s31, v7, 0
	v_mov_b32_e32 v7, s30
	v_add_co_u32_e64 v2, s[0:1], s29, v2
	v_addc_co_u32_e64 v3, s[0:1], v7, v3, s[0:1]
	v_add_u32_e32 v1, s34, v1
	v_cmp_le_i32_e64 s[0:1], s19, v1
	s_or_b64 s[4:5], s[0:1], s[4:5]
	global_store_short v[2:3], v6, off
	s_andn2_b64 exec, exec, s[4:5]
	s_cbranch_execz .LBB44_23
.LBB44_29:                              ;   Parent Loop BB44_24 Depth=1
                                        ; =>  This Inner Loop Header: Depth=2
	v_ashrrev_i32_e32 v2, 31, v1
	v_add_co_u32_e64 v6, s[0:1], s28, v1
	v_addc_co_u32_e64 v7, s[0:1], v5, v2, s[0:1]
	global_load_ubyte v6, v[6:7], off
	v_mov_b32_e32 v7, 0
	s_waitcnt vmcnt(0)
	v_cmp_ne_u16_e64 s[0:1], 0, v6
	s_and_saveexec_b64 s[6:7], s[0:1]
	s_cbranch_execz .LBB44_28
; %bb.30:                               ;   in Loop: Header=BB44_29 Depth=2
	v_cmp_ne_u16_e64 s[0:1], s26, v6
	v_bfrev_b32_e32 v7, 1
	s_and_saveexec_b64 s[8:9], s[0:1]
	s_cbranch_execz .LBB44_27
; %bb.31:                               ;   in Loop: Header=BB44_29 Depth=2
	v_and_b32_e32 v3, 0xffff, v6
	v_and_b32_e32 v8, 0x7f, v3
	v_cmp_ne_u32_e64 s[0:1], s27, v8
	v_mov_b32_e32 v7, 0x7f800001
	s_and_saveexec_b64 s[10:11], s[0:1]
	s_cbranch_execz .LBB44_26
; %bb.32:                               ;   in Loop: Header=BB44_29 Depth=2
	v_and_b32_e32 v7, 7, v3
	v_ffbh_u32_e32 v9, v7
	v_min_u32_e32 v12, 32, v9
	v_subrev_u32_e32 v9, 28, v12
	v_lshlrev_b64 v[9:10], v9, v[3:4]
	v_lshrrev_b32_e32 v11, 3, v8
	v_sub_u32_e32 v3, 29, v12
	v_and_b32_e32 v9, 7, v9
	v_cmp_gt_u32_e64 s[0:1], 8, v8
	v_cndmask_b32_e64 v3, v11, v3, s[0:1]
	v_cndmask_b32_e64 v7, v7, v9, s[0:1]
	v_lshlrev_b32_e32 v6, 24, v6
	v_lshlrev_b32_e32 v7, 20, v7
	v_and_b32_e32 v6, 0x80000000, v6
	v_lshl_add_u32 v3, v3, 23, v4
	v_or3_b32 v7, v6, v3, v7
	s_branch .LBB44_26
.LBB44_33:
	s_endpgm
	.section	.rodata,"a",@progbits
	.p2align	6, 0x0
	.amdhsa_kernel _ZN4vllm30gather_and_maybe_dequant_cacheIthLNS_18Fp8KVCacheDataTypeE1EEEvPKT0_PT_PKiS8_iillllPKfS8_
		.amdhsa_group_segment_fixed_size 0
		.amdhsa_private_segment_fixed_size 0
		.amdhsa_kernarg_size 344
		.amdhsa_user_sgpr_count 6
		.amdhsa_user_sgpr_private_segment_buffer 1
		.amdhsa_user_sgpr_dispatch_ptr 0
		.amdhsa_user_sgpr_queue_ptr 0
		.amdhsa_user_sgpr_kernarg_segment_ptr 1
		.amdhsa_user_sgpr_dispatch_id 0
		.amdhsa_user_sgpr_flat_scratch_init 0
		.amdhsa_user_sgpr_private_segment_size 0
		.amdhsa_uses_dynamic_stack 0
		.amdhsa_system_sgpr_private_segment_wavefront_offset 0
		.amdhsa_system_sgpr_workgroup_id_x 1
		.amdhsa_system_sgpr_workgroup_id_y 1
		.amdhsa_system_sgpr_workgroup_id_z 0
		.amdhsa_system_sgpr_workgroup_info 0
		.amdhsa_system_vgpr_workitem_id 0
		.amdhsa_next_free_vgpr 13
		.amdhsa_next_free_sgpr 48
		.amdhsa_reserve_vcc 1
		.amdhsa_reserve_flat_scratch 0
		.amdhsa_float_round_mode_32 0
		.amdhsa_float_round_mode_16_64 0
		.amdhsa_float_denorm_mode_32 3
		.amdhsa_float_denorm_mode_16_64 3
		.amdhsa_dx10_clamp 1
		.amdhsa_ieee_mode 1
		.amdhsa_fp16_overflow 0
		.amdhsa_exception_fp_ieee_invalid_op 0
		.amdhsa_exception_fp_denorm_src 0
		.amdhsa_exception_fp_ieee_div_zero 0
		.amdhsa_exception_fp_ieee_overflow 0
		.amdhsa_exception_fp_ieee_underflow 0
		.amdhsa_exception_fp_ieee_inexact 0
		.amdhsa_exception_int_div_zero 0
	.end_amdhsa_kernel
	.section	.text._ZN4vllm30gather_and_maybe_dequant_cacheIthLNS_18Fp8KVCacheDataTypeE1EEEvPKT0_PT_PKiS8_iillllPKfS8_,"axG",@progbits,_ZN4vllm30gather_and_maybe_dequant_cacheIthLNS_18Fp8KVCacheDataTypeE1EEEvPKT0_PT_PKiS8_iillllPKfS8_,comdat
.Lfunc_end44:
	.size	_ZN4vllm30gather_and_maybe_dequant_cacheIthLNS_18Fp8KVCacheDataTypeE1EEEvPKT0_PT_PKiS8_iillllPKfS8_, .Lfunc_end44-_ZN4vllm30gather_and_maybe_dequant_cacheIthLNS_18Fp8KVCacheDataTypeE1EEEvPKT0_PT_PKiS8_iillllPKfS8_
                                        ; -- End function
	.set _ZN4vllm30gather_and_maybe_dequant_cacheIthLNS_18Fp8KVCacheDataTypeE1EEEvPKT0_PT_PKiS8_iillllPKfS8_.num_vgpr, 13
	.set _ZN4vllm30gather_and_maybe_dequant_cacheIthLNS_18Fp8KVCacheDataTypeE1EEEvPKT0_PT_PKiS8_iillllPKfS8_.num_agpr, 0
	.set _ZN4vllm30gather_and_maybe_dequant_cacheIthLNS_18Fp8KVCacheDataTypeE1EEEvPKT0_PT_PKiS8_iillllPKfS8_.numbered_sgpr, 48
	.set _ZN4vllm30gather_and_maybe_dequant_cacheIthLNS_18Fp8KVCacheDataTypeE1EEEvPKT0_PT_PKiS8_iillllPKfS8_.num_named_barrier, 0
	.set _ZN4vllm30gather_and_maybe_dequant_cacheIthLNS_18Fp8KVCacheDataTypeE1EEEvPKT0_PT_PKiS8_iillllPKfS8_.private_seg_size, 0
	.set _ZN4vllm30gather_and_maybe_dequant_cacheIthLNS_18Fp8KVCacheDataTypeE1EEEvPKT0_PT_PKiS8_iillllPKfS8_.uses_vcc, 1
	.set _ZN4vllm30gather_and_maybe_dequant_cacheIthLNS_18Fp8KVCacheDataTypeE1EEEvPKT0_PT_PKiS8_iillllPKfS8_.uses_flat_scratch, 0
	.set _ZN4vllm30gather_and_maybe_dequant_cacheIthLNS_18Fp8KVCacheDataTypeE1EEEvPKT0_PT_PKiS8_iillllPKfS8_.has_dyn_sized_stack, 0
	.set _ZN4vllm30gather_and_maybe_dequant_cacheIthLNS_18Fp8KVCacheDataTypeE1EEEvPKT0_PT_PKiS8_iillllPKfS8_.has_recursion, 0
	.set _ZN4vllm30gather_and_maybe_dequant_cacheIthLNS_18Fp8KVCacheDataTypeE1EEEvPKT0_PT_PKiS8_iillllPKfS8_.has_indirect_call, 0
	.section	.AMDGPU.csdata,"",@progbits
; Kernel info:
; codeLenInByte = 1740
; TotalNumSgprs: 52
; NumVgprs: 13
; ScratchSize: 0
; MemoryBound: 0
; FloatMode: 240
; IeeeMode: 1
; LDSByteSize: 0 bytes/workgroup (compile time only)
; SGPRBlocks: 6
; VGPRBlocks: 3
; NumSGPRsForWavesPerEU: 52
; NumVGPRsForWavesPerEU: 13
; Occupancy: 10
; WaveLimiterHint : 1
; COMPUTE_PGM_RSRC2:SCRATCH_EN: 0
; COMPUTE_PGM_RSRC2:USER_SGPR: 6
; COMPUTE_PGM_RSRC2:TRAP_HANDLER: 0
; COMPUTE_PGM_RSRC2:TGID_X_EN: 1
; COMPUTE_PGM_RSRC2:TGID_Y_EN: 1
; COMPUTE_PGM_RSRC2:TGID_Z_EN: 0
; COMPUTE_PGM_RSRC2:TIDIG_COMP_CNT: 0
	.section	.text._ZN4vllm30gather_and_maybe_dequant_cacheI14__hip_bfloat16hLNS_18Fp8KVCacheDataTypeE1EEEvPKT0_PT_PKiS9_iillllPKfS9_,"axG",@progbits,_ZN4vllm30gather_and_maybe_dequant_cacheI14__hip_bfloat16hLNS_18Fp8KVCacheDataTypeE1EEEvPKT0_PT_PKiS9_iillllPKfS9_,comdat
	.protected	_ZN4vllm30gather_and_maybe_dequant_cacheI14__hip_bfloat16hLNS_18Fp8KVCacheDataTypeE1EEEvPKT0_PT_PKiS9_iillllPKfS9_ ; -- Begin function _ZN4vllm30gather_and_maybe_dequant_cacheI14__hip_bfloat16hLNS_18Fp8KVCacheDataTypeE1EEEvPKT0_PT_PKiS9_iillllPKfS9_
	.globl	_ZN4vllm30gather_and_maybe_dequant_cacheI14__hip_bfloat16hLNS_18Fp8KVCacheDataTypeE1EEEvPKT0_PT_PKiS9_iillllPKfS9_
	.p2align	8
	.type	_ZN4vllm30gather_and_maybe_dequant_cacheI14__hip_bfloat16hLNS_18Fp8KVCacheDataTypeE1EEEvPKT0_PT_PKiS9_iillllPKfS9_,@function
_ZN4vllm30gather_and_maybe_dequant_cacheI14__hip_bfloat16hLNS_18Fp8KVCacheDataTypeE1EEEvPKT0_PT_PKiS9_iillllPKfS9_: ; @_ZN4vllm30gather_and_maybe_dequant_cacheI14__hip_bfloat16hLNS_18Fp8KVCacheDataTypeE1EEEvPKT0_PT_PKiS9_iillllPKfS9_
; %bb.0:
	s_load_dwordx4 s[16:19], s[4:5], 0x18
	s_load_dword s1, s[4:5], 0x5c
	s_mov_b32 s0, s7
	s_mov_b32 s7, 0
	s_add_u32 s20, s4, 0x58
	s_addc_u32 s21, s5, 0
	s_lshl_b64 s[8:9], s[6:7], 2
	s_waitcnt lgkmcnt(0)
	s_add_u32 s2, s16, s8
	s_addc_u32 s3, s17, s9
	s_abs_i32 s7, s18
	v_cvt_f32_u32_e32 v1, s7
	s_load_dwordx2 s[28:29], s[2:3], 0x0
	s_sub_i32 s10, 0, s7
	s_ashr_i32 s14, s18, 31
	v_rcp_iflag_f32_e32 v1, v1
	s_waitcnt lgkmcnt(0)
	s_sub_i32 s12, s29, s28
	s_add_i32 s2, s18, s12
	v_mul_f32_e32 v1, 0x4f7ffffe, v1
	v_cvt_u32_f32_e32 v1, v1
	s_add_i32 s2, s2, -1
	s_ashr_i32 s3, s2, 31
	s_abs_i32 s2, s2
	v_readfirstlane_b32 s13, v1
	s_mul_i32 s10, s10, s13
	s_mul_hi_u32 s10, s13, s10
	s_add_i32 s13, s13, s10
	s_mul_hi_u32 s10, s2, s13
	s_mul_i32 s11, s10, s7
	s_sub_i32 s2, s2, s11
	s_xor_b32 s3, s3, s14
	s_add_i32 s11, s10, 1
	s_sub_i32 s15, s2, s7
	s_cmp_ge_u32 s2, s7
	s_cselect_b32 s10, s11, s10
	s_cselect_b32 s2, s15, s2
	s_add_i32 s11, s10, 1
	s_cmp_ge_u32 s2, s7
	s_cselect_b32 s2, s11, s10
	s_abs_i32 s10, s1
	v_cvt_f32_u32_e32 v1, s10
	s_xor_b32 s2, s2, s3
	s_sub_i32 s15, s2, s3
	s_sub_i32 s3, 0, s10
	v_rcp_iflag_f32_e32 v1, v1
	s_add_i32 s2, s1, s15
	s_add_i32 s2, s2, -1
	s_xor_b32 s1, s2, s1
	v_mul_f32_e32 v1, 0x4f7ffffe, v1
	v_cvt_u32_f32_e32 v1, v1
	s_abs_i32 s2, s2
	s_ashr_i32 s1, s1, 31
	v_readfirstlane_b32 s11, v1
	s_mul_i32 s3, s3, s11
	s_mul_hi_u32 s3, s11, s3
	s_add_i32 s11, s11, s3
	s_mul_hi_u32 s3, s2, s11
	s_mul_i32 s11, s3, s10
	s_sub_i32 s2, s2, s11
	s_add_i32 s11, s3, 1
	s_sub_i32 s16, s2, s10
	s_cmp_ge_u32 s2, s10
	s_cselect_b32 s3, s11, s3
	s_cselect_b32 s2, s16, s2
	s_add_i32 s11, s3, 1
	s_cmp_ge_u32 s2, s10
	s_cselect_b32 s2, s11, s3
	s_xor_b32 s2, s2, s1
	s_sub_i32 s23, s2, s1
	s_mul_i32 s22, s23, s0
	s_cmp_ge_i32 s22, s15
	s_cbranch_scc1 .LBB45_33
; %bb.1:
	s_load_dwordx2 s[10:11], s[4:5], 0x50
	s_load_dwordx4 s[0:3], s[4:5], 0x8
	s_mov_b64 s[30:31], 0
	s_waitcnt lgkmcnt(0)
	s_cmp_eq_u64 s[10:11], 0
	s_cbranch_scc1 .LBB45_3
; %bb.2:
	s_add_u32 s8, s10, s8
	s_addc_u32 s9, s11, s9
	s_load_dword s8, s[8:9], 0x0
	s_waitcnt lgkmcnt(0)
	s_ashr_i32 s9, s8, 31
	s_abs_i32 s8, s8
	s_mul_hi_u32 s10, s8, s13
	s_mul_i32 s11, s10, s7
	s_sub_i32 s8, s8, s11
	s_xor_b32 s9, s9, s14
	s_add_i32 s14, s10, 1
	s_sub_i32 s11, s8, s7
	s_cmp_ge_u32 s8, s7
	s_cselect_b32 s10, s14, s10
	s_cselect_b32 s8, s11, s8
	s_add_i32 s11, s10, 1
	s_cmp_ge_u32 s8, s7
	s_cselect_b32 s8, s11, s10
	s_xor_b32 s8, s8, s9
	s_sub_i32 s30, s8, s9
	s_ashr_i32 s31, s30, 31
.LBB45_3:
	s_load_dwordx2 s[16:17], s[4:5], 0x48
	s_load_dwordx2 s[24:25], s[4:5], 0x0
	s_add_i32 s8, s22, s23
	s_min_i32 s26, s8, s15
	s_cmp_gt_i32 s15, s8
	s_mov_b32 s33, 0
	s_cbranch_scc1 .LBB45_5
; %bb.4:
	s_abs_i32 s9, s12
	s_mul_hi_u32 s10, s9, s13
	s_mul_i32 s10, s10, s7
	s_sub_i32 s9, s9, s10
	s_ashr_i32 s8, s12, 31
	s_sub_i32 s10, s9, s7
	s_cmp_ge_u32 s9, s7
	s_cselect_b32 s9, s10, s9
	s_sub_i32 s10, s9, s7
	s_cmp_ge_u32 s9, s7
	s_cselect_b32 s7, s10, s9
	s_xor_b32 s7, s7, s8
	s_sub_i32 s33, s7, s8
	s_cmp_lg_u32 s33, 0
	s_cselect_b64 s[8:9], -1, 0
	s_cmp_lg_u64 s[8:9], 0
	s_subb_u32 s26, s26, 0
.LBB45_5:
	s_load_dwordx8 s[8:15], s[4:5], 0x28
	s_waitcnt lgkmcnt(0)
	s_mul_i32 s4, s6, s8
	s_ashr_i32 s5, s4, 31
	s_lshl_b64 s[4:5], s[4:5], 2
	s_add_u32 s4, s2, s4
	s_addc_u32 s5, s3, s5
	s_lshl_b64 s[2:3], s[30:31], 2
	s_add_u32 s36, s4, s2
	s_addc_u32 s37, s5, s3
	s_ashr_i32 s2, s28, 31
	s_mul_hi_u32 s6, s14, s28
	s_mul_i32 s2, s14, s2
	s_mul_i32 s7, s15, s28
	s_add_i32 s2, s6, s2
	s_add_i32 s3, s2, s7
	s_mul_i32 s2, s14, s28
	s_lshl_b64 s[2:3], s[2:3], 1
	s_add_u32 s34, s0, s2
	s_addc_u32 s35, s1, s3
	s_cmp_ge_i32 s22, s26
	s_cbranch_scc1 .LBB45_20
; %bb.6:
	s_cmp_gt_i32 s18, 0
	s_cselect_b64 s[2:3], -1, 0
	v_cndmask_b32_e64 v1, 0, 1, s[2:3]
	v_cmp_gt_i32_e64 s[0:1], s19, v0
	v_cmp_ne_u32_e64 s[2:3], 1, v1
	s_movk_i32 s27, 0x80
	s_movk_i32 s38, 0x7f
	;; [unrolled: 1-line block ×3, first 2 shown]
	v_bfrev_b32_e32 v4, 60
	s_branch .LBB45_8
.LBB45_7:                               ;   in Loop: Header=BB45_8 Depth=1
	s_add_i32 s22, s22, 1
	s_cmp_ge_i32 s22, s26
	s_cbranch_scc1 .LBB45_20
.LBB45_8:                               ; =>This Loop Header: Depth=1
                                        ;     Child Loop BB45_11 Depth 2
                                        ;       Child Loop BB45_16 Depth 3
	s_and_b64 vcc, exec, s[2:3]
	s_cbranch_vccnz .LBB45_7
; %bb.9:                                ;   in Loop: Header=BB45_8 Depth=1
	s_ashr_i32 s23, s22, 31
	s_lshl_b64 s[4:5], s[22:23], 2
	s_add_u32 s4, s36, s4
	s_addc_u32 s5, s37, s5
	s_load_dword s4, s[4:5], 0x0
	s_mul_i32 s6, s22, s18
	s_mov_b32 s43, 0
	s_waitcnt lgkmcnt(0)
	s_ashr_i32 s5, s4, 31
	s_mul_hi_u32 s7, s10, s4
	s_mul_i32 s5, s10, s5
	s_mul_i32 s8, s11, s4
	s_add_i32 s5, s7, s5
	s_mul_i32 s4, s10, s4
	s_add_i32 s5, s5, s8
	s_add_u32 s23, s24, s4
	s_addc_u32 s40, s25, s5
	s_ashr_i32 s4, s6, 31
	s_mul_i32 s4, s14, s4
	s_mul_hi_u32 s5, s14, s6
	s_add_i32 s4, s5, s4
	s_mul_i32 s5, s15, s6
	s_add_i32 s5, s4, s5
	s_mul_i32 s4, s14, s6
	s_lshl_b64 s[4:5], s[4:5], 1
	s_add_u32 s41, s34, s4
	s_addc_u32 s42, s35, s5
	s_branch .LBB45_11
.LBB45_10:                              ;   in Loop: Header=BB45_11 Depth=2
	s_or_b64 exec, exec, s[4:5]
	s_add_i32 s43, s43, 1
	s_cmp_eq_u32 s43, s18
	s_cbranch_scc1 .LBB45_7
.LBB45_11:                              ;   Parent Loop BB45_8 Depth=1
                                        ; =>  This Loop Header: Depth=2
                                        ;       Child Loop BB45_16 Depth 3
	s_and_saveexec_b64 s[4:5], s[0:1]
	s_cbranch_execz .LBB45_10
; %bb.12:                               ;   in Loop: Header=BB45_11 Depth=2
	s_mul_i32 s6, s13, s43
	s_mul_hi_u32 s7, s12, s43
	s_add_i32 s7, s7, s6
	s_mul_i32 s6, s12, s43
	s_add_u32 s44, s23, s6
	s_addc_u32 s8, s40, s7
	s_mul_i32 s6, s15, s43
	s_mul_hi_u32 s7, s14, s43
	s_load_dword s9, s[20:21], 0xc
	s_add_i32 s7, s7, s6
	s_mul_i32 s6, s14, s43
	s_load_dword s46, s[16:17], 0x0
	s_lshl_b64 s[6:7], s[6:7], 1
	s_add_u32 s45, s41, s6
	s_addc_u32 s28, s42, s7
	s_waitcnt lgkmcnt(0)
	s_and_b32 s47, s9, 0xffff
	s_mov_b64 s[6:7], 0
	v_mov_b32_e32 v5, s8
	v_mov_b32_e32 v6, s28
	;; [unrolled: 1-line block ×3, first 2 shown]
	s_branch .LBB45_16
.LBB45_13:                              ;   in Loop: Header=BB45_16 Depth=3
	s_or_b64 exec, exec, s[30:31]
.LBB45_14:                              ;   in Loop: Header=BB45_16 Depth=3
	s_or_b64 exec, exec, s[28:29]
.LBB45_15:                              ;   in Loop: Header=BB45_16 Depth=3
	s_or_b64 exec, exec, s[8:9]
	v_mul_f32_e32 v3, s46, v8
	v_bfe_u32 v7, v3, 16, 1
	v_add3_u32 v7, v7, v3, s39
	v_or_b32_e32 v8, 0x400000, v3
	v_cmp_u_f32_e32 vcc, v3, v3
	v_lshlrev_b64 v[2:3], 1, v[1:2]
	v_cndmask_b32_e32 v7, v7, v8, vcc
	v_add_co_u32_e32 v2, vcc, s45, v2
	v_addc_co_u32_e32 v3, vcc, v6, v3, vcc
	v_add_u32_e32 v1, s47, v1
	v_cmp_le_i32_e32 vcc, s19, v1
	s_or_b64 s[6:7], vcc, s[6:7]
	global_store_short_d16_hi v[2:3], v7, off
	s_andn2_b64 exec, exec, s[6:7]
	s_cbranch_execz .LBB45_10
.LBB45_16:                              ;   Parent Loop BB45_8 Depth=1
                                        ;     Parent Loop BB45_11 Depth=2
                                        ; =>    This Inner Loop Header: Depth=3
	v_ashrrev_i32_e32 v2, 31, v1
	v_add_co_u32_e32 v7, vcc, s44, v1
	v_addc_co_u32_e32 v8, vcc, v5, v2, vcc
	global_load_ubyte v7, v[7:8], off
	v_mov_b32_e32 v8, 0
	s_waitcnt vmcnt(0)
	v_cmp_ne_u16_e32 vcc, 0, v7
	s_and_saveexec_b64 s[8:9], vcc
	s_cbranch_execz .LBB45_15
; %bb.17:                               ;   in Loop: Header=BB45_16 Depth=3
	v_cmp_ne_u16_e32 vcc, s27, v7
	v_bfrev_b32_e32 v8, 1
	s_and_saveexec_b64 s[28:29], vcc
	s_cbranch_execz .LBB45_14
; %bb.18:                               ;   in Loop: Header=BB45_16 Depth=3
	v_and_b32_e32 v3, 0xffff, v7
	v_and_b32_e32 v9, 0x7f, v3
	v_cmp_ne_u32_e32 vcc, s38, v9
	v_mov_b32_e32 v8, 0x7f800001
	s_and_saveexec_b64 s[30:31], vcc
	s_cbranch_execz .LBB45_13
; %bb.19:                               ;   in Loop: Header=BB45_16 Depth=3
	v_and_b32_e32 v8, 7, v3
	v_ffbh_u32_e32 v10, v8
	v_min_u32_e32 v13, 32, v10
	v_subrev_u32_e32 v10, 28, v13
	v_lshlrev_b64 v[10:11], v10, v[3:4]
	v_lshrrev_b32_e32 v12, 3, v9
	v_sub_u32_e32 v3, 29, v13
	v_and_b32_e32 v10, 7, v10
	v_cmp_gt_u32_e32 vcc, 8, v9
	v_cndmask_b32_e32 v3, v12, v3, vcc
	v_cndmask_b32_e32 v8, v8, v10, vcc
	v_lshlrev_b32_e32 v7, 24, v7
	v_lshlrev_b32_e32 v8, 20, v8
	v_and_b32_e32 v7, 0x80000000, v7
	v_lshl_add_u32 v3, v3, 23, v4
	v_or3_b32 v8, v7, v3, v8
	s_branch .LBB45_13
.LBB45_20:
	s_cmp_lg_u32 s33, 0
	s_cbranch_scc0 .LBB45_33
; %bb.21:
	s_cmp_lt_i32 s33, 1
	s_cbranch_scc1 .LBB45_33
; %bb.22:
	s_ashr_i32 s27, s26, 31
	s_lshl_b64 s[0:1], s[26:27], 2
	s_add_u32 s0, s36, s0
	s_addc_u32 s1, s37, s1
	s_load_dword s0, s[0:1], 0x0
	s_mul_i32 s2, s26, s18
	v_cmp_gt_i32_e32 vcc, s19, v0
	s_movk_i32 s26, 0x80
	s_movk_i32 s27, 0x7f
	s_waitcnt lgkmcnt(0)
	s_ashr_i32 s1, s0, 31
	s_mul_hi_u32 s3, s10, s0
	s_mul_i32 s1, s10, s1
	s_mul_i32 s4, s11, s0
	s_add_i32 s1, s3, s1
	s_mul_i32 s0, s10, s0
	s_add_i32 s1, s1, s4
	s_add_u32 s18, s24, s0
	s_addc_u32 s22, s25, s1
	s_ashr_i32 s0, s2, 31
	s_mul_i32 s0, s14, s0
	s_mul_hi_u32 s1, s14, s2
	s_add_i32 s0, s1, s0
	s_mul_i32 s1, s15, s2
	s_add_i32 s1, s0, s1
	s_mul_i32 s0, s14, s2
	s_lshl_b64 s[0:1], s[0:1], 1
	s_add_u32 s23, s34, s0
	s_addc_u32 s24, s35, s1
	s_mov_b32 s25, 0
	s_movk_i32 s28, 0x7fff
	v_bfrev_b32_e32 v4, 60
	s_branch .LBB45_24
.LBB45_23:                              ;   in Loop: Header=BB45_24 Depth=1
	s_or_b64 exec, exec, s[2:3]
	s_add_i32 s25, s25, 1
	s_cmp_lg_u32 s25, s33
	s_cbranch_scc0 .LBB45_33
.LBB45_24:                              ; =>This Loop Header: Depth=1
                                        ;     Child Loop BB45_29 Depth 2
	s_and_saveexec_b64 s[2:3], vcc
	s_cbranch_execz .LBB45_23
; %bb.25:                               ;   in Loop: Header=BB45_24 Depth=1
	s_mul_i32 s0, s13, s25
	s_mul_hi_u32 s1, s12, s25
	s_add_i32 s1, s1, s0
	s_mul_i32 s0, s12, s25
	s_add_u32 s29, s18, s0
	s_addc_u32 s6, s22, s1
	s_mul_i32 s0, s15, s25
	s_mul_hi_u32 s1, s14, s25
	s_load_dword s4, s[20:21], 0xc
	s_add_i32 s1, s1, s0
	s_mul_i32 s0, s14, s25
	s_load_dword s31, s[16:17], 0x0
	s_lshl_b64 s[0:1], s[0:1], 1
	s_add_u32 s30, s23, s0
	s_addc_u32 s0, s24, s1
	s_waitcnt lgkmcnt(0)
	s_and_b32 s34, s4, 0xffff
	s_mov_b64 s[4:5], 0
	v_mov_b32_e32 v5, s6
	v_mov_b32_e32 v6, s0
	;; [unrolled: 1-line block ×3, first 2 shown]
	s_branch .LBB45_29
.LBB45_26:                              ;   in Loop: Header=BB45_29 Depth=2
	s_or_b64 exec, exec, s[10:11]
.LBB45_27:                              ;   in Loop: Header=BB45_29 Depth=2
	s_or_b64 exec, exec, s[8:9]
.LBB45_28:                              ;   in Loop: Header=BB45_29 Depth=2
	s_or_b64 exec, exec, s[6:7]
	v_mul_f32_e32 v3, s31, v8
	v_bfe_u32 v7, v3, 16, 1
	v_add3_u32 v7, v7, v3, s28
	v_or_b32_e32 v8, 0x400000, v3
	v_cmp_u_f32_e64 s[0:1], v3, v3
	v_lshlrev_b64 v[2:3], 1, v[1:2]
	v_cndmask_b32_e64 v7, v7, v8, s[0:1]
	v_add_co_u32_e64 v2, s[0:1], s30, v2
	v_addc_co_u32_e64 v3, s[0:1], v6, v3, s[0:1]
	v_add_u32_e32 v1, s34, v1
	v_cmp_le_i32_e64 s[0:1], s19, v1
	s_or_b64 s[4:5], s[0:1], s[4:5]
	global_store_short_d16_hi v[2:3], v7, off
	s_andn2_b64 exec, exec, s[4:5]
	s_cbranch_execz .LBB45_23
.LBB45_29:                              ;   Parent Loop BB45_24 Depth=1
                                        ; =>  This Inner Loop Header: Depth=2
	v_ashrrev_i32_e32 v2, 31, v1
	v_add_co_u32_e64 v7, s[0:1], s29, v1
	v_addc_co_u32_e64 v8, s[0:1], v5, v2, s[0:1]
	global_load_ubyte v7, v[7:8], off
	v_mov_b32_e32 v8, 0
	s_waitcnt vmcnt(0)
	v_cmp_ne_u16_e64 s[0:1], 0, v7
	s_and_saveexec_b64 s[6:7], s[0:1]
	s_cbranch_execz .LBB45_28
; %bb.30:                               ;   in Loop: Header=BB45_29 Depth=2
	v_cmp_ne_u16_e64 s[0:1], s26, v7
	v_bfrev_b32_e32 v8, 1
	s_and_saveexec_b64 s[8:9], s[0:1]
	s_cbranch_execz .LBB45_27
; %bb.31:                               ;   in Loop: Header=BB45_29 Depth=2
	v_and_b32_e32 v3, 0xffff, v7
	v_and_b32_e32 v9, 0x7f, v3
	v_cmp_ne_u32_e64 s[0:1], s27, v9
	v_mov_b32_e32 v8, 0x7f800001
	s_and_saveexec_b64 s[10:11], s[0:1]
	s_cbranch_execz .LBB45_26
; %bb.32:                               ;   in Loop: Header=BB45_29 Depth=2
	v_and_b32_e32 v8, 7, v3
	v_ffbh_u32_e32 v10, v8
	v_min_u32_e32 v13, 32, v10
	v_subrev_u32_e32 v10, 28, v13
	v_lshlrev_b64 v[10:11], v10, v[3:4]
	v_lshrrev_b32_e32 v12, 3, v9
	v_sub_u32_e32 v3, 29, v13
	v_and_b32_e32 v10, 7, v10
	v_cmp_gt_u32_e64 s[0:1], 8, v9
	v_cndmask_b32_e64 v3, v12, v3, s[0:1]
	v_cndmask_b32_e64 v8, v8, v10, s[0:1]
	v_lshlrev_b32_e32 v7, 24, v7
	v_lshlrev_b32_e32 v8, 20, v8
	v_and_b32_e32 v7, 0x80000000, v7
	v_lshl_add_u32 v3, v3, 23, v4
	v_or3_b32 v8, v7, v3, v8
	s_branch .LBB45_26
.LBB45_33:
	s_endpgm
	.section	.rodata,"a",@progbits
	.p2align	6, 0x0
	.amdhsa_kernel _ZN4vllm30gather_and_maybe_dequant_cacheI14__hip_bfloat16hLNS_18Fp8KVCacheDataTypeE1EEEvPKT0_PT_PKiS9_iillllPKfS9_
		.amdhsa_group_segment_fixed_size 0
		.amdhsa_private_segment_fixed_size 0
		.amdhsa_kernarg_size 344
		.amdhsa_user_sgpr_count 6
		.amdhsa_user_sgpr_private_segment_buffer 1
		.amdhsa_user_sgpr_dispatch_ptr 0
		.amdhsa_user_sgpr_queue_ptr 0
		.amdhsa_user_sgpr_kernarg_segment_ptr 1
		.amdhsa_user_sgpr_dispatch_id 0
		.amdhsa_user_sgpr_flat_scratch_init 0
		.amdhsa_user_sgpr_private_segment_size 0
		.amdhsa_uses_dynamic_stack 0
		.amdhsa_system_sgpr_private_segment_wavefront_offset 0
		.amdhsa_system_sgpr_workgroup_id_x 1
		.amdhsa_system_sgpr_workgroup_id_y 1
		.amdhsa_system_sgpr_workgroup_id_z 0
		.amdhsa_system_sgpr_workgroup_info 0
		.amdhsa_system_vgpr_workitem_id 0
		.amdhsa_next_free_vgpr 14
		.amdhsa_next_free_sgpr 48
		.amdhsa_reserve_vcc 1
		.amdhsa_reserve_flat_scratch 0
		.amdhsa_float_round_mode_32 0
		.amdhsa_float_round_mode_16_64 0
		.amdhsa_float_denorm_mode_32 3
		.amdhsa_float_denorm_mode_16_64 3
		.amdhsa_dx10_clamp 1
		.amdhsa_ieee_mode 1
		.amdhsa_fp16_overflow 0
		.amdhsa_exception_fp_ieee_invalid_op 0
		.amdhsa_exception_fp_denorm_src 0
		.amdhsa_exception_fp_ieee_div_zero 0
		.amdhsa_exception_fp_ieee_overflow 0
		.amdhsa_exception_fp_ieee_underflow 0
		.amdhsa_exception_fp_ieee_inexact 0
		.amdhsa_exception_int_div_zero 0
	.end_amdhsa_kernel
	.section	.text._ZN4vllm30gather_and_maybe_dequant_cacheI14__hip_bfloat16hLNS_18Fp8KVCacheDataTypeE1EEEvPKT0_PT_PKiS9_iillllPKfS9_,"axG",@progbits,_ZN4vllm30gather_and_maybe_dequant_cacheI14__hip_bfloat16hLNS_18Fp8KVCacheDataTypeE1EEEvPKT0_PT_PKiS9_iillllPKfS9_,comdat
.Lfunc_end45:
	.size	_ZN4vllm30gather_and_maybe_dequant_cacheI14__hip_bfloat16hLNS_18Fp8KVCacheDataTypeE1EEEvPKT0_PT_PKiS9_iillllPKfS9_, .Lfunc_end45-_ZN4vllm30gather_and_maybe_dequant_cacheI14__hip_bfloat16hLNS_18Fp8KVCacheDataTypeE1EEEvPKT0_PT_PKiS9_iillllPKfS9_
                                        ; -- End function
	.set _ZN4vllm30gather_and_maybe_dequant_cacheI14__hip_bfloat16hLNS_18Fp8KVCacheDataTypeE1EEEvPKT0_PT_PKiS9_iillllPKfS9_.num_vgpr, 14
	.set _ZN4vllm30gather_and_maybe_dequant_cacheI14__hip_bfloat16hLNS_18Fp8KVCacheDataTypeE1EEEvPKT0_PT_PKiS9_iillllPKfS9_.num_agpr, 0
	.set _ZN4vllm30gather_and_maybe_dequant_cacheI14__hip_bfloat16hLNS_18Fp8KVCacheDataTypeE1EEEvPKT0_PT_PKiS9_iillllPKfS9_.numbered_sgpr, 48
	.set _ZN4vllm30gather_and_maybe_dequant_cacheI14__hip_bfloat16hLNS_18Fp8KVCacheDataTypeE1EEEvPKT0_PT_PKiS9_iillllPKfS9_.num_named_barrier, 0
	.set _ZN4vllm30gather_and_maybe_dequant_cacheI14__hip_bfloat16hLNS_18Fp8KVCacheDataTypeE1EEEvPKT0_PT_PKiS9_iillllPKfS9_.private_seg_size, 0
	.set _ZN4vllm30gather_and_maybe_dequant_cacheI14__hip_bfloat16hLNS_18Fp8KVCacheDataTypeE1EEEvPKT0_PT_PKiS9_iillllPKfS9_.uses_vcc, 1
	.set _ZN4vllm30gather_and_maybe_dequant_cacheI14__hip_bfloat16hLNS_18Fp8KVCacheDataTypeE1EEEvPKT0_PT_PKiS9_iillllPKfS9_.uses_flat_scratch, 0
	.set _ZN4vllm30gather_and_maybe_dequant_cacheI14__hip_bfloat16hLNS_18Fp8KVCacheDataTypeE1EEEvPKT0_PT_PKiS9_iillllPKfS9_.has_dyn_sized_stack, 0
	.set _ZN4vllm30gather_and_maybe_dequant_cacheI14__hip_bfloat16hLNS_18Fp8KVCacheDataTypeE1EEEvPKT0_PT_PKiS9_iillllPKfS9_.has_recursion, 0
	.set _ZN4vllm30gather_and_maybe_dequant_cacheI14__hip_bfloat16hLNS_18Fp8KVCacheDataTypeE1EEEvPKT0_PT_PKiS9_iillllPKfS9_.has_indirect_call, 0
	.section	.AMDGPU.csdata,"",@progbits
; Kernel info:
; codeLenInByte = 1812
; TotalNumSgprs: 52
; NumVgprs: 14
; ScratchSize: 0
; MemoryBound: 0
; FloatMode: 240
; IeeeMode: 1
; LDSByteSize: 0 bytes/workgroup (compile time only)
; SGPRBlocks: 6
; VGPRBlocks: 3
; NumSGPRsForWavesPerEU: 52
; NumVGPRsForWavesPerEU: 14
; Occupancy: 10
; WaveLimiterHint : 1
; COMPUTE_PGM_RSRC2:SCRATCH_EN: 0
; COMPUTE_PGM_RSRC2:USER_SGPR: 6
; COMPUTE_PGM_RSRC2:TRAP_HANDLER: 0
; COMPUTE_PGM_RSRC2:TGID_X_EN: 1
; COMPUTE_PGM_RSRC2:TGID_Y_EN: 1
; COMPUTE_PGM_RSRC2:TGID_Z_EN: 0
; COMPUTE_PGM_RSRC2:TIDIG_COMP_CNT: 0
	.section	.text._ZN4vllm15cp_gather_cacheIjEEvPKT_PS1_PKiS6_iillllS6_,"axG",@progbits,_ZN4vllm15cp_gather_cacheIjEEvPKT_PS1_PKiS6_iillllS6_,comdat
	.protected	_ZN4vllm15cp_gather_cacheIjEEvPKT_PS1_PKiS6_iillllS6_ ; -- Begin function _ZN4vllm15cp_gather_cacheIjEEvPKT_PS1_PKiS6_iillllS6_
	.globl	_ZN4vllm15cp_gather_cacheIjEEvPKT_PS1_PKiS6_iillllS6_
	.p2align	8
	.type	_ZN4vllm15cp_gather_cacheIjEEvPKT_PS1_PKiS6_iillllS6_,@function
_ZN4vllm15cp_gather_cacheIjEEvPKT_PS1_PKiS6_iillllS6_: ; @_ZN4vllm15cp_gather_cacheIjEEvPKT_PS1_PKiS6_iillllS6_
; %bb.0:
	s_load_dwordx2 s[10:11], s[4:5], 0x18
	s_load_dword s1, s[4:5], 0x54
	s_mov_b32 s0, s7
	s_mov_b32 s7, 0
	s_add_u32 s2, s4, 0x50
	s_addc_u32 s3, s5, 0
	s_lshl_b64 s[8:9], s[6:7], 2
	s_waitcnt lgkmcnt(0)
	s_add_u32 s10, s10, s8
	s_addc_u32 s11, s11, s9
	s_abs_i32 s7, s1
	v_cvt_f32_u32_e32 v1, s7
	s_load_dwordx2 s[22:23], s[10:11], 0x0
	s_sub_i32 s12, 0, s7
	v_rcp_iflag_f32_e32 v1, v1
	s_waitcnt lgkmcnt(0)
	s_sub_i32 s10, s23, s22
	s_add_i32 s11, s1, s10
	v_mul_f32_e32 v1, 0x4f7ffffe, v1
	v_cvt_u32_f32_e32 v1, v1
	s_add_i32 s11, s11, -1
	s_xor_b32 s1, s11, s1
	s_abs_i32 s11, s11
	v_readfirstlane_b32 s13, v1
	s_mul_i32 s12, s12, s13
	s_mul_hi_u32 s12, s13, s12
	s_add_i32 s13, s13, s12
	s_mul_hi_u32 s12, s11, s13
	s_mul_i32 s13, s12, s7
	s_sub_i32 s11, s11, s13
	s_ashr_i32 s1, s1, 31
	s_add_i32 s13, s12, 1
	s_sub_i32 s14, s11, s7
	s_cmp_ge_u32 s11, s7
	s_cselect_b32 s12, s13, s12
	s_cselect_b32 s11, s14, s11
	s_add_i32 s13, s12, 1
	s_cmp_ge_u32 s11, s7
	s_cselect_b32 s7, s13, s12
	s_xor_b32 s7, s7, s1
	s_sub_i32 s11, s7, s1
	s_mul_i32 s23, s11, s0
	s_cmp_ge_i32 s23, s10
	s_cbranch_scc1 .LBB46_9
; %bb.1:
	s_load_dwordx2 s[0:1], s[4:5], 0x48
	s_mov_b32 s7, s23
	s_waitcnt lgkmcnt(0)
	s_cmp_eq_u64 s[0:1], 0
	s_cbranch_scc1 .LBB46_3
; %bb.2:
	s_add_u32 s0, s0, s8
	s_addc_u32 s1, s1, s9
	s_load_dword s0, s[0:1], 0x0
	s_waitcnt lgkmcnt(0)
	s_add_i32 s7, s0, s23
.LBB46_3:
	s_add_i32 s0, s23, s11
	s_min_i32 s24, s0, s10
	s_cmp_ge_i32 s23, s24
	s_cbranch_scc1 .LBB46_9
; %bb.4:
	s_load_dwordx8 s[8:15], s[4:5], 0x28
	s_load_dwordx4 s[16:19], s[4:5], 0x0
	s_load_dwordx2 s[0:1], s[4:5], 0x10
	s_load_dwordx2 s[20:21], s[4:5], 0x20
	s_waitcnt lgkmcnt(0)
	s_mul_i32 s4, s6, s8
	s_ashr_i32 s5, s4, 31
	s_lshl_b64 s[4:5], s[4:5], 2
	s_add_u32 s25, s0, s4
	s_addc_u32 s26, s1, s5
	s_ashr_i32 s0, s22, 31
	s_mul_hi_u32 s1, s14, s22
	s_mul_i32 s0, s14, s0
	s_add_i32 s0, s1, s0
	s_mul_i32 s1, s15, s22
	s_add_i32 s1, s0, s1
	s_mul_i32 s0, s14, s22
	s_lshl_b64 s[0:1], s[0:1], 2
	s_add_u32 s18, s18, s0
	s_addc_u32 s19, s19, s1
	s_abs_i32 s0, s20
	v_cvt_f32_u32_e32 v1, s0
	s_sub_i32 s5, 0, s0
	s_abs_i32 s4, s7
	s_xor_b32 s1, s7, s20
	v_rcp_iflag_f32_e32 v1, v1
	s_ashr_i32 s1, s1, 31
	v_cmp_gt_i32_e32 vcc, s21, v0
	v_mul_f32_e32 v1, 0x4f7ffffe, v1
	v_cvt_u32_f32_e32 v1, v1
	v_readfirstlane_b32 s6, v1
	s_mul_i32 s5, s5, s6
	s_mul_hi_u32 s5, s6, s5
	s_add_i32 s6, s6, s5
	s_mul_hi_u32 s5, s4, s6
	s_mul_i32 s6, s5, s0
	s_sub_i32 s4, s4, s6
	s_add_i32 s8, s5, 1
	s_sub_i32 s6, s4, s0
	s_cmp_ge_u32 s4, s0
	s_cselect_b32 s5, s8, s5
	s_cselect_b32 s4, s6, s4
	s_add_i32 s6, s5, 1
	s_cmp_ge_u32 s4, s0
	s_cselect_b32 s0, s6, s5
	s_xor_b32 s0, s0, s1
	s_sub_i32 s4, s0, s1
	s_mul_i32 s0, s4, s20
	s_sub_i32 s22, s7, s0
	s_branch .LBB46_6
.LBB46_5:                               ;   in Loop: Header=BB46_6 Depth=1
	s_or_b64 exec, exec, s[6:7]
	s_add_i32 s5, s22, 1
	s_cmp_eq_u32 s5, s20
	s_cselect_b64 s[0:1], -1, 0
	s_and_b64 s[6:7], s[0:1], exec
	s_cselect_b32 s22, 0, s5
	s_cmp_lg_u64 s[0:1], 0
	s_addc_u32 s4, s4, 0
	s_add_i32 s23, s23, 1
	s_cmp_lt_i32 s23, s24
	s_cbranch_scc0 .LBB46_9
.LBB46_6:                               ; =>This Loop Header: Depth=1
                                        ;     Child Loop BB46_8 Depth 2
	s_and_saveexec_b64 s[6:7], vcc
	s_cbranch_execz .LBB46_5
; %bb.7:                                ;   in Loop: Header=BB46_6 Depth=1
	s_ashr_i32 s5, s4, 31
	s_lshl_b64 s[0:1], s[4:5], 2
	s_add_u32 s0, s25, s0
	s_addc_u32 s1, s26, s1
	s_load_dword s0, s[0:1], 0x0
	v_mov_b32_e32 v1, v0
	s_load_dword s28, s[2:3], 0xc
	s_waitcnt lgkmcnt(0)
	s_ashr_i32 s1, s0, 31
	s_mul_hi_u32 s5, s10, s0
	s_mul_i32 s1, s10, s1
	s_mul_i32 s8, s11, s0
	s_add_i32 s1, s5, s1
	s_mul_i32 s0, s10, s0
	s_add_i32 s1, s1, s8
	s_lshl_b64 s[0:1], s[0:1], 2
	s_add_u32 s8, s16, s0
	s_addc_u32 s9, s17, s1
	s_ashr_i32 s0, s23, 31
	s_mul_hi_u32 s1, s14, s23
	s_mul_i32 s0, s14, s0
	s_add_i32 s0, s1, s0
	s_mul_i32 s1, s15, s23
	s_add_i32 s1, s0, s1
	s_mul_i32 s0, s14, s23
	s_lshl_b64 s[0:1], s[0:1], 2
	s_add_u32 s5, s18, s0
	s_addc_u32 s29, s19, s1
	s_ashr_i32 s0, s22, 31
	s_mul_hi_u32 s1, s12, s22
	s_mul_i32 s0, s12, s0
	s_add_i32 s0, s1, s0
	s_mul_i32 s1, s13, s22
	s_add_i32 s1, s0, s1
	s_mul_i32 s0, s12, s22
	s_lshl_b64 s[0:1], s[0:1], 2
	s_add_u32 s27, s8, s0
	s_addc_u32 s0, s9, s1
	s_and_b32 s28, s28, 0xffff
	s_mov_b64 s[8:9], 0
	v_mov_b32_e32 v3, s0
	v_mov_b32_e32 v4, s29
.LBB46_8:                               ;   Parent Loop BB46_6 Depth=1
                                        ; =>  This Inner Loop Header: Depth=2
	v_ashrrev_i32_e32 v2, 31, v1
	v_lshlrev_b64 v[5:6], 2, v[1:2]
	v_add_u32_e32 v1, s28, v1
	v_add_co_u32_e64 v7, s[0:1], s27, v5
	v_addc_co_u32_e64 v8, s[0:1], v3, v6, s[0:1]
	global_load_dword v2, v[7:8], off
	v_add_co_u32_e64 v5, s[0:1], s5, v5
	v_addc_co_u32_e64 v6, s[0:1], v4, v6, s[0:1]
	v_cmp_le_i32_e64 s[0:1], s21, v1
	s_or_b64 s[8:9], s[0:1], s[8:9]
	s_waitcnt vmcnt(0)
	global_store_dword v[5:6], v2, off
	s_andn2_b64 exec, exec, s[8:9]
	s_cbranch_execnz .LBB46_8
	s_branch .LBB46_5
.LBB46_9:
	s_endpgm
	.section	.rodata,"a",@progbits
	.p2align	6, 0x0
	.amdhsa_kernel _ZN4vllm15cp_gather_cacheIjEEvPKT_PS1_PKiS6_iillllS6_
		.amdhsa_group_segment_fixed_size 0
		.amdhsa_private_segment_fixed_size 0
		.amdhsa_kernarg_size 336
		.amdhsa_user_sgpr_count 6
		.amdhsa_user_sgpr_private_segment_buffer 1
		.amdhsa_user_sgpr_dispatch_ptr 0
		.amdhsa_user_sgpr_queue_ptr 0
		.amdhsa_user_sgpr_kernarg_segment_ptr 1
		.amdhsa_user_sgpr_dispatch_id 0
		.amdhsa_user_sgpr_flat_scratch_init 0
		.amdhsa_user_sgpr_private_segment_size 0
		.amdhsa_uses_dynamic_stack 0
		.amdhsa_system_sgpr_private_segment_wavefront_offset 0
		.amdhsa_system_sgpr_workgroup_id_x 1
		.amdhsa_system_sgpr_workgroup_id_y 1
		.amdhsa_system_sgpr_workgroup_id_z 0
		.amdhsa_system_sgpr_workgroup_info 0
		.amdhsa_system_vgpr_workitem_id 0
		.amdhsa_next_free_vgpr 9
		.amdhsa_next_free_sgpr 30
		.amdhsa_reserve_vcc 1
		.amdhsa_reserve_flat_scratch 0
		.amdhsa_float_round_mode_32 0
		.amdhsa_float_round_mode_16_64 0
		.amdhsa_float_denorm_mode_32 3
		.amdhsa_float_denorm_mode_16_64 3
		.amdhsa_dx10_clamp 1
		.amdhsa_ieee_mode 1
		.amdhsa_fp16_overflow 0
		.amdhsa_exception_fp_ieee_invalid_op 0
		.amdhsa_exception_fp_denorm_src 0
		.amdhsa_exception_fp_ieee_div_zero 0
		.amdhsa_exception_fp_ieee_overflow 0
		.amdhsa_exception_fp_ieee_underflow 0
		.amdhsa_exception_fp_ieee_inexact 0
		.amdhsa_exception_int_div_zero 0
	.end_amdhsa_kernel
	.section	.text._ZN4vllm15cp_gather_cacheIjEEvPKT_PS1_PKiS6_iillllS6_,"axG",@progbits,_ZN4vllm15cp_gather_cacheIjEEvPKT_PS1_PKiS6_iillllS6_,comdat
.Lfunc_end46:
	.size	_ZN4vllm15cp_gather_cacheIjEEvPKT_PS1_PKiS6_iillllS6_, .Lfunc_end46-_ZN4vllm15cp_gather_cacheIjEEvPKT_PS1_PKiS6_iillllS6_
                                        ; -- End function
	.set _ZN4vllm15cp_gather_cacheIjEEvPKT_PS1_PKiS6_iillllS6_.num_vgpr, 9
	.set _ZN4vllm15cp_gather_cacheIjEEvPKT_PS1_PKiS6_iillllS6_.num_agpr, 0
	.set _ZN4vllm15cp_gather_cacheIjEEvPKT_PS1_PKiS6_iillllS6_.numbered_sgpr, 30
	.set _ZN4vllm15cp_gather_cacheIjEEvPKT_PS1_PKiS6_iillllS6_.num_named_barrier, 0
	.set _ZN4vllm15cp_gather_cacheIjEEvPKT_PS1_PKiS6_iillllS6_.private_seg_size, 0
	.set _ZN4vllm15cp_gather_cacheIjEEvPKT_PS1_PKiS6_iillllS6_.uses_vcc, 1
	.set _ZN4vllm15cp_gather_cacheIjEEvPKT_PS1_PKiS6_iillllS6_.uses_flat_scratch, 0
	.set _ZN4vllm15cp_gather_cacheIjEEvPKT_PS1_PKiS6_iillllS6_.has_dyn_sized_stack, 0
	.set _ZN4vllm15cp_gather_cacheIjEEvPKT_PS1_PKiS6_iillllS6_.has_recursion, 0
	.set _ZN4vllm15cp_gather_cacheIjEEvPKT_PS1_PKiS6_iillllS6_.has_indirect_call, 0
	.section	.AMDGPU.csdata,"",@progbits
; Kernel info:
; codeLenInByte = 808
; TotalNumSgprs: 34
; NumVgprs: 9
; ScratchSize: 0
; MemoryBound: 0
; FloatMode: 240
; IeeeMode: 1
; LDSByteSize: 0 bytes/workgroup (compile time only)
; SGPRBlocks: 4
; VGPRBlocks: 2
; NumSGPRsForWavesPerEU: 34
; NumVGPRsForWavesPerEU: 9
; Occupancy: 10
; WaveLimiterHint : 1
; COMPUTE_PGM_RSRC2:SCRATCH_EN: 0
; COMPUTE_PGM_RSRC2:USER_SGPR: 6
; COMPUTE_PGM_RSRC2:TRAP_HANDLER: 0
; COMPUTE_PGM_RSRC2:TGID_X_EN: 1
; COMPUTE_PGM_RSRC2:TGID_Y_EN: 1
; COMPUTE_PGM_RSRC2:TGID_Z_EN: 0
; COMPUTE_PGM_RSRC2:TIDIG_COMP_CNT: 0
	.section	.text._ZN4vllm15cp_gather_cacheItEEvPKT_PS1_PKiS6_iillllS6_,"axG",@progbits,_ZN4vllm15cp_gather_cacheItEEvPKT_PS1_PKiS6_iillllS6_,comdat
	.protected	_ZN4vllm15cp_gather_cacheItEEvPKT_PS1_PKiS6_iillllS6_ ; -- Begin function _ZN4vllm15cp_gather_cacheItEEvPKT_PS1_PKiS6_iillllS6_
	.globl	_ZN4vllm15cp_gather_cacheItEEvPKT_PS1_PKiS6_iillllS6_
	.p2align	8
	.type	_ZN4vllm15cp_gather_cacheItEEvPKT_PS1_PKiS6_iillllS6_,@function
_ZN4vllm15cp_gather_cacheItEEvPKT_PS1_PKiS6_iillllS6_: ; @_ZN4vllm15cp_gather_cacheItEEvPKT_PS1_PKiS6_iillllS6_
; %bb.0:
	s_load_dwordx2 s[10:11], s[4:5], 0x18
	s_load_dword s1, s[4:5], 0x54
	s_mov_b32 s0, s7
	s_mov_b32 s7, 0
	s_add_u32 s2, s4, 0x50
	s_addc_u32 s3, s5, 0
	s_lshl_b64 s[8:9], s[6:7], 2
	s_waitcnt lgkmcnt(0)
	s_add_u32 s10, s10, s8
	s_addc_u32 s11, s11, s9
	s_abs_i32 s7, s1
	v_cvt_f32_u32_e32 v1, s7
	s_load_dwordx2 s[22:23], s[10:11], 0x0
	s_sub_i32 s12, 0, s7
	v_rcp_iflag_f32_e32 v1, v1
	s_waitcnt lgkmcnt(0)
	s_sub_i32 s10, s23, s22
	s_add_i32 s11, s1, s10
	v_mul_f32_e32 v1, 0x4f7ffffe, v1
	v_cvt_u32_f32_e32 v1, v1
	s_add_i32 s11, s11, -1
	s_xor_b32 s1, s11, s1
	s_abs_i32 s11, s11
	v_readfirstlane_b32 s13, v1
	s_mul_i32 s12, s12, s13
	s_mul_hi_u32 s12, s13, s12
	s_add_i32 s13, s13, s12
	s_mul_hi_u32 s12, s11, s13
	s_mul_i32 s13, s12, s7
	s_sub_i32 s11, s11, s13
	s_ashr_i32 s1, s1, 31
	s_add_i32 s13, s12, 1
	s_sub_i32 s14, s11, s7
	s_cmp_ge_u32 s11, s7
	s_cselect_b32 s12, s13, s12
	s_cselect_b32 s11, s14, s11
	s_add_i32 s13, s12, 1
	s_cmp_ge_u32 s11, s7
	s_cselect_b32 s7, s13, s12
	s_xor_b32 s7, s7, s1
	s_sub_i32 s11, s7, s1
	s_mul_i32 s23, s11, s0
	s_cmp_ge_i32 s23, s10
	s_cbranch_scc1 .LBB47_9
; %bb.1:
	s_load_dwordx2 s[0:1], s[4:5], 0x48
	s_mov_b32 s7, s23
	s_waitcnt lgkmcnt(0)
	s_cmp_eq_u64 s[0:1], 0
	s_cbranch_scc1 .LBB47_3
; %bb.2:
	s_add_u32 s0, s0, s8
	s_addc_u32 s1, s1, s9
	s_load_dword s0, s[0:1], 0x0
	s_waitcnt lgkmcnt(0)
	s_add_i32 s7, s0, s23
.LBB47_3:
	s_add_i32 s0, s23, s11
	s_min_i32 s24, s0, s10
	s_cmp_ge_i32 s23, s24
	s_cbranch_scc1 .LBB47_9
; %bb.4:
	s_load_dwordx8 s[8:15], s[4:5], 0x28
	s_load_dwordx4 s[16:19], s[4:5], 0x0
	s_load_dwordx2 s[0:1], s[4:5], 0x10
	s_load_dwordx2 s[20:21], s[4:5], 0x20
	s_waitcnt lgkmcnt(0)
	s_mul_i32 s4, s6, s8
	s_ashr_i32 s5, s4, 31
	s_lshl_b64 s[4:5], s[4:5], 2
	s_add_u32 s25, s0, s4
	s_addc_u32 s26, s1, s5
	s_ashr_i32 s0, s22, 31
	s_mul_hi_u32 s1, s14, s22
	s_mul_i32 s0, s14, s0
	s_add_i32 s0, s1, s0
	s_mul_i32 s1, s15, s22
	s_add_i32 s1, s0, s1
	s_mul_i32 s0, s14, s22
	s_lshl_b64 s[0:1], s[0:1], 1
	s_add_u32 s18, s18, s0
	s_addc_u32 s19, s19, s1
	s_abs_i32 s0, s20
	v_cvt_f32_u32_e32 v1, s0
	s_sub_i32 s5, 0, s0
	s_abs_i32 s4, s7
	s_xor_b32 s1, s7, s20
	v_rcp_iflag_f32_e32 v1, v1
	s_ashr_i32 s1, s1, 31
	v_cmp_gt_i32_e32 vcc, s21, v0
	v_mul_f32_e32 v1, 0x4f7ffffe, v1
	v_cvt_u32_f32_e32 v1, v1
	v_readfirstlane_b32 s6, v1
	s_mul_i32 s5, s5, s6
	s_mul_hi_u32 s5, s6, s5
	s_add_i32 s6, s6, s5
	s_mul_hi_u32 s5, s4, s6
	s_mul_i32 s6, s5, s0
	s_sub_i32 s4, s4, s6
	s_add_i32 s8, s5, 1
	s_sub_i32 s6, s4, s0
	s_cmp_ge_u32 s4, s0
	s_cselect_b32 s5, s8, s5
	s_cselect_b32 s4, s6, s4
	s_add_i32 s6, s5, 1
	s_cmp_ge_u32 s4, s0
	s_cselect_b32 s0, s6, s5
	s_xor_b32 s0, s0, s1
	s_sub_i32 s4, s0, s1
	s_mul_i32 s0, s4, s20
	s_sub_i32 s22, s7, s0
	s_branch .LBB47_6
.LBB47_5:                               ;   in Loop: Header=BB47_6 Depth=1
	s_or_b64 exec, exec, s[6:7]
	s_add_i32 s5, s22, 1
	s_cmp_eq_u32 s5, s20
	s_cselect_b64 s[0:1], -1, 0
	s_and_b64 s[6:7], s[0:1], exec
	s_cselect_b32 s22, 0, s5
	s_cmp_lg_u64 s[0:1], 0
	s_addc_u32 s4, s4, 0
	s_add_i32 s23, s23, 1
	s_cmp_lt_i32 s23, s24
	s_cbranch_scc0 .LBB47_9
.LBB47_6:                               ; =>This Loop Header: Depth=1
                                        ;     Child Loop BB47_8 Depth 2
	s_and_saveexec_b64 s[6:7], vcc
	s_cbranch_execz .LBB47_5
; %bb.7:                                ;   in Loop: Header=BB47_6 Depth=1
	s_ashr_i32 s5, s4, 31
	s_lshl_b64 s[0:1], s[4:5], 2
	s_add_u32 s0, s25, s0
	s_addc_u32 s1, s26, s1
	s_load_dword s0, s[0:1], 0x0
	v_mov_b32_e32 v1, v0
	s_load_dword s28, s[2:3], 0xc
	s_waitcnt lgkmcnt(0)
	s_ashr_i32 s1, s0, 31
	s_mul_hi_u32 s5, s10, s0
	s_mul_i32 s1, s10, s1
	s_mul_i32 s8, s11, s0
	s_add_i32 s1, s5, s1
	s_mul_i32 s0, s10, s0
	s_add_i32 s1, s1, s8
	s_lshl_b64 s[0:1], s[0:1], 1
	s_add_u32 s8, s16, s0
	s_addc_u32 s9, s17, s1
	s_ashr_i32 s0, s23, 31
	s_mul_hi_u32 s1, s14, s23
	s_mul_i32 s0, s14, s0
	s_add_i32 s0, s1, s0
	s_mul_i32 s1, s15, s23
	s_add_i32 s1, s0, s1
	s_mul_i32 s0, s14, s23
	s_lshl_b64 s[0:1], s[0:1], 1
	s_add_u32 s5, s18, s0
	s_addc_u32 s29, s19, s1
	s_ashr_i32 s0, s22, 31
	s_mul_hi_u32 s1, s12, s22
	s_mul_i32 s0, s12, s0
	s_add_i32 s0, s1, s0
	s_mul_i32 s1, s13, s22
	s_add_i32 s1, s0, s1
	s_mul_i32 s0, s12, s22
	s_lshl_b64 s[0:1], s[0:1], 1
	s_add_u32 s27, s8, s0
	s_addc_u32 s0, s9, s1
	s_and_b32 s28, s28, 0xffff
	s_mov_b64 s[8:9], 0
	v_mov_b32_e32 v3, s0
	v_mov_b32_e32 v4, s29
.LBB47_8:                               ;   Parent Loop BB47_6 Depth=1
                                        ; =>  This Inner Loop Header: Depth=2
	v_ashrrev_i32_e32 v2, 31, v1
	v_lshlrev_b64 v[5:6], 1, v[1:2]
	v_add_u32_e32 v1, s28, v1
	v_add_co_u32_e64 v7, s[0:1], s27, v5
	v_addc_co_u32_e64 v8, s[0:1], v3, v6, s[0:1]
	global_load_ushort v2, v[7:8], off
	v_add_co_u32_e64 v5, s[0:1], s5, v5
	v_addc_co_u32_e64 v6, s[0:1], v4, v6, s[0:1]
	v_cmp_le_i32_e64 s[0:1], s21, v1
	s_or_b64 s[8:9], s[0:1], s[8:9]
	s_waitcnt vmcnt(0)
	global_store_short v[5:6], v2, off
	s_andn2_b64 exec, exec, s[8:9]
	s_cbranch_execnz .LBB47_8
	s_branch .LBB47_5
.LBB47_9:
	s_endpgm
	.section	.rodata,"a",@progbits
	.p2align	6, 0x0
	.amdhsa_kernel _ZN4vllm15cp_gather_cacheItEEvPKT_PS1_PKiS6_iillllS6_
		.amdhsa_group_segment_fixed_size 0
		.amdhsa_private_segment_fixed_size 0
		.amdhsa_kernarg_size 336
		.amdhsa_user_sgpr_count 6
		.amdhsa_user_sgpr_private_segment_buffer 1
		.amdhsa_user_sgpr_dispatch_ptr 0
		.amdhsa_user_sgpr_queue_ptr 0
		.amdhsa_user_sgpr_kernarg_segment_ptr 1
		.amdhsa_user_sgpr_dispatch_id 0
		.amdhsa_user_sgpr_flat_scratch_init 0
		.amdhsa_user_sgpr_private_segment_size 0
		.amdhsa_uses_dynamic_stack 0
		.amdhsa_system_sgpr_private_segment_wavefront_offset 0
		.amdhsa_system_sgpr_workgroup_id_x 1
		.amdhsa_system_sgpr_workgroup_id_y 1
		.amdhsa_system_sgpr_workgroup_id_z 0
		.amdhsa_system_sgpr_workgroup_info 0
		.amdhsa_system_vgpr_workitem_id 0
		.amdhsa_next_free_vgpr 9
		.amdhsa_next_free_sgpr 30
		.amdhsa_reserve_vcc 1
		.amdhsa_reserve_flat_scratch 0
		.amdhsa_float_round_mode_32 0
		.amdhsa_float_round_mode_16_64 0
		.amdhsa_float_denorm_mode_32 3
		.amdhsa_float_denorm_mode_16_64 3
		.amdhsa_dx10_clamp 1
		.amdhsa_ieee_mode 1
		.amdhsa_fp16_overflow 0
		.amdhsa_exception_fp_ieee_invalid_op 0
		.amdhsa_exception_fp_denorm_src 0
		.amdhsa_exception_fp_ieee_div_zero 0
		.amdhsa_exception_fp_ieee_overflow 0
		.amdhsa_exception_fp_ieee_underflow 0
		.amdhsa_exception_fp_ieee_inexact 0
		.amdhsa_exception_int_div_zero 0
	.end_amdhsa_kernel
	.section	.text._ZN4vllm15cp_gather_cacheItEEvPKT_PS1_PKiS6_iillllS6_,"axG",@progbits,_ZN4vllm15cp_gather_cacheItEEvPKT_PS1_PKiS6_iillllS6_,comdat
.Lfunc_end47:
	.size	_ZN4vllm15cp_gather_cacheItEEvPKT_PS1_PKiS6_iillllS6_, .Lfunc_end47-_ZN4vllm15cp_gather_cacheItEEvPKT_PS1_PKiS6_iillllS6_
                                        ; -- End function
	.set _ZN4vllm15cp_gather_cacheItEEvPKT_PS1_PKiS6_iillllS6_.num_vgpr, 9
	.set _ZN4vllm15cp_gather_cacheItEEvPKT_PS1_PKiS6_iillllS6_.num_agpr, 0
	.set _ZN4vllm15cp_gather_cacheItEEvPKT_PS1_PKiS6_iillllS6_.numbered_sgpr, 30
	.set _ZN4vllm15cp_gather_cacheItEEvPKT_PS1_PKiS6_iillllS6_.num_named_barrier, 0
	.set _ZN4vllm15cp_gather_cacheItEEvPKT_PS1_PKiS6_iillllS6_.private_seg_size, 0
	.set _ZN4vllm15cp_gather_cacheItEEvPKT_PS1_PKiS6_iillllS6_.uses_vcc, 1
	.set _ZN4vllm15cp_gather_cacheItEEvPKT_PS1_PKiS6_iillllS6_.uses_flat_scratch, 0
	.set _ZN4vllm15cp_gather_cacheItEEvPKT_PS1_PKiS6_iillllS6_.has_dyn_sized_stack, 0
	.set _ZN4vllm15cp_gather_cacheItEEvPKT_PS1_PKiS6_iillllS6_.has_recursion, 0
	.set _ZN4vllm15cp_gather_cacheItEEvPKT_PS1_PKiS6_iillllS6_.has_indirect_call, 0
	.section	.AMDGPU.csdata,"",@progbits
; Kernel info:
; codeLenInByte = 808
; TotalNumSgprs: 34
; NumVgprs: 9
; ScratchSize: 0
; MemoryBound: 0
; FloatMode: 240
; IeeeMode: 1
; LDSByteSize: 0 bytes/workgroup (compile time only)
; SGPRBlocks: 4
; VGPRBlocks: 2
; NumSGPRsForWavesPerEU: 34
; NumVGPRsForWavesPerEU: 9
; Occupancy: 10
; WaveLimiterHint : 1
; COMPUTE_PGM_RSRC2:SCRATCH_EN: 0
; COMPUTE_PGM_RSRC2:USER_SGPR: 6
; COMPUTE_PGM_RSRC2:TRAP_HANDLER: 0
; COMPUTE_PGM_RSRC2:TGID_X_EN: 1
; COMPUTE_PGM_RSRC2:TGID_Y_EN: 1
; COMPUTE_PGM_RSRC2:TGID_Z_EN: 0
; COMPUTE_PGM_RSRC2:TIDIG_COMP_CNT: 0
	.section	.text._ZN4vllm15cp_gather_cacheIhEEvPKT_PS1_PKiS6_iillllS6_,"axG",@progbits,_ZN4vllm15cp_gather_cacheIhEEvPKT_PS1_PKiS6_iillllS6_,comdat
	.protected	_ZN4vllm15cp_gather_cacheIhEEvPKT_PS1_PKiS6_iillllS6_ ; -- Begin function _ZN4vllm15cp_gather_cacheIhEEvPKT_PS1_PKiS6_iillllS6_
	.globl	_ZN4vllm15cp_gather_cacheIhEEvPKT_PS1_PKiS6_iillllS6_
	.p2align	8
	.type	_ZN4vllm15cp_gather_cacheIhEEvPKT_PS1_PKiS6_iillllS6_,@function
_ZN4vllm15cp_gather_cacheIhEEvPKT_PS1_PKiS6_iillllS6_: ; @_ZN4vllm15cp_gather_cacheIhEEvPKT_PS1_PKiS6_iillllS6_
; %bb.0:
	s_load_dwordx2 s[10:11], s[4:5], 0x18
	s_load_dword s1, s[4:5], 0x54
	s_mov_b32 s0, s7
	s_mov_b32 s7, 0
	s_add_u32 s2, s4, 0x50
	s_addc_u32 s3, s5, 0
	s_lshl_b64 s[8:9], s[6:7], 2
	s_waitcnt lgkmcnt(0)
	s_add_u32 s10, s10, s8
	s_addc_u32 s11, s11, s9
	s_abs_i32 s7, s1
	v_cvt_f32_u32_e32 v1, s7
	s_load_dwordx2 s[22:23], s[10:11], 0x0
	s_sub_i32 s12, 0, s7
	v_rcp_iflag_f32_e32 v1, v1
	s_waitcnt lgkmcnt(0)
	s_sub_i32 s10, s23, s22
	s_add_i32 s11, s1, s10
	v_mul_f32_e32 v1, 0x4f7ffffe, v1
	v_cvt_u32_f32_e32 v1, v1
	s_add_i32 s11, s11, -1
	s_xor_b32 s1, s11, s1
	s_abs_i32 s11, s11
	v_readfirstlane_b32 s13, v1
	s_mul_i32 s12, s12, s13
	s_mul_hi_u32 s12, s13, s12
	s_add_i32 s13, s13, s12
	s_mul_hi_u32 s12, s11, s13
	s_mul_i32 s13, s12, s7
	s_sub_i32 s11, s11, s13
	s_ashr_i32 s1, s1, 31
	s_add_i32 s13, s12, 1
	s_sub_i32 s14, s11, s7
	s_cmp_ge_u32 s11, s7
	s_cselect_b32 s12, s13, s12
	s_cselect_b32 s11, s14, s11
	s_add_i32 s13, s12, 1
	s_cmp_ge_u32 s11, s7
	s_cselect_b32 s7, s13, s12
	s_xor_b32 s7, s7, s1
	s_sub_i32 s11, s7, s1
	s_mul_i32 s23, s11, s0
	s_cmp_ge_i32 s23, s10
	s_cbranch_scc1 .LBB48_9
; %bb.1:
	s_load_dwordx2 s[0:1], s[4:5], 0x48
	s_mov_b32 s7, s23
	s_waitcnt lgkmcnt(0)
	s_cmp_eq_u64 s[0:1], 0
	s_cbranch_scc1 .LBB48_3
; %bb.2:
	s_add_u32 s0, s0, s8
	s_addc_u32 s1, s1, s9
	s_load_dword s0, s[0:1], 0x0
	s_waitcnt lgkmcnt(0)
	s_add_i32 s7, s0, s23
.LBB48_3:
	s_add_i32 s0, s23, s11
	s_min_i32 s24, s0, s10
	s_cmp_ge_i32 s23, s24
	s_cbranch_scc1 .LBB48_9
; %bb.4:
	s_load_dwordx8 s[8:15], s[4:5], 0x28
	s_load_dwordx4 s[16:19], s[4:5], 0x0
	s_load_dwordx2 s[0:1], s[4:5], 0x10
	s_load_dwordx2 s[20:21], s[4:5], 0x20
	s_waitcnt lgkmcnt(0)
	s_mul_i32 s4, s6, s8
	s_ashr_i32 s5, s4, 31
	s_lshl_b64 s[4:5], s[4:5], 2
	s_add_u32 s25, s0, s4
	s_addc_u32 s26, s1, s5
	s_ashr_i32 s0, s22, 31
	s_mul_hi_u32 s1, s14, s22
	s_mul_i32 s0, s14, s0
	s_add_i32 s0, s1, s0
	s_mul_i32 s1, s15, s22
	s_add_i32 s0, s0, s1
	s_mul_i32 s1, s14, s22
	s_add_u32 s18, s18, s1
	s_addc_u32 s19, s19, s0
	s_abs_i32 s0, s20
	v_cvt_f32_u32_e32 v1, s0
	s_sub_i32 s5, 0, s0
	s_abs_i32 s4, s7
	s_xor_b32 s1, s7, s20
	v_rcp_iflag_f32_e32 v1, v1
	s_ashr_i32 s1, s1, 31
	v_cmp_gt_i32_e32 vcc, s21, v0
	v_mul_f32_e32 v1, 0x4f7ffffe, v1
	v_cvt_u32_f32_e32 v1, v1
	v_readfirstlane_b32 s6, v1
	s_mul_i32 s5, s5, s6
	s_mul_hi_u32 s5, s6, s5
	s_add_i32 s6, s6, s5
	s_mul_hi_u32 s5, s4, s6
	s_mul_i32 s6, s5, s0
	s_sub_i32 s4, s4, s6
	s_add_i32 s8, s5, 1
	s_sub_i32 s6, s4, s0
	s_cmp_ge_u32 s4, s0
	s_cselect_b32 s5, s8, s5
	s_cselect_b32 s4, s6, s4
	s_add_i32 s6, s5, 1
	s_cmp_ge_u32 s4, s0
	s_cselect_b32 s0, s6, s5
	s_xor_b32 s0, s0, s1
	s_sub_i32 s4, s0, s1
	s_mul_i32 s0, s4, s20
	s_sub_i32 s22, s7, s0
	s_branch .LBB48_6
.LBB48_5:                               ;   in Loop: Header=BB48_6 Depth=1
	s_or_b64 exec, exec, s[6:7]
	s_add_i32 s5, s22, 1
	s_cmp_eq_u32 s5, s20
	s_cselect_b64 s[0:1], -1, 0
	s_and_b64 s[6:7], s[0:1], exec
	s_cselect_b32 s22, 0, s5
	s_cmp_lg_u64 s[0:1], 0
	s_addc_u32 s4, s4, 0
	s_add_i32 s23, s23, 1
	s_cmp_lt_i32 s23, s24
	s_cbranch_scc0 .LBB48_9
.LBB48_6:                               ; =>This Loop Header: Depth=1
                                        ;     Child Loop BB48_8 Depth 2
	s_and_saveexec_b64 s[6:7], vcc
	s_cbranch_execz .LBB48_5
; %bb.7:                                ;   in Loop: Header=BB48_6 Depth=1
	s_ashr_i32 s5, s4, 31
	s_lshl_b64 s[0:1], s[4:5], 2
	s_add_u32 s0, s25, s0
	s_addc_u32 s1, s26, s1
	s_load_dword s0, s[0:1], 0x0
	s_mul_hi_u32 s9, s12, s22
	s_load_dword s28, s[2:3], 0xc
	v_mov_b32_e32 v3, v0
	s_waitcnt lgkmcnt(0)
	s_ashr_i32 s1, s0, 31
	s_mul_hi_u32 s5, s10, s0
	s_mul_i32 s1, s10, s1
	s_mul_i32 s8, s11, s0
	s_add_i32 s1, s5, s1
	s_mul_i32 s0, s10, s0
	s_add_i32 s1, s1, s8
	s_add_u32 s0, s16, s0
	s_addc_u32 s1, s17, s1
	s_ashr_i32 s5, s23, 31
	s_mul_hi_u32 s8, s14, s23
	s_mul_i32 s5, s14, s5
	s_add_i32 s5, s8, s5
	s_mul_i32 s8, s15, s23
	s_add_i32 s8, s5, s8
	s_mul_i32 s5, s14, s23
	s_add_u32 s5, s18, s5
	s_addc_u32 s29, s19, s8
	s_ashr_i32 s8, s22, 31
	s_mul_i32 s8, s12, s8
	s_add_i32 s8, s9, s8
	s_mul_i32 s9, s13, s22
	s_add_i32 s8, s8, s9
	s_mul_i32 s9, s12, s22
	s_add_u32 s27, s0, s9
	s_addc_u32 s0, s1, s8
	s_and_b32 s28, s28, 0xffff
	s_mov_b64 s[8:9], 0
	v_mov_b32_e32 v1, s0
	v_mov_b32_e32 v2, s29
.LBB48_8:                               ;   Parent Loop BB48_6 Depth=1
                                        ; =>  This Inner Loop Header: Depth=2
	v_ashrrev_i32_e32 v6, 31, v3
	v_add_co_u32_e64 v4, s[0:1], s27, v3
	v_addc_co_u32_e64 v5, s[0:1], v1, v6, s[0:1]
	global_load_ubyte v7, v[4:5], off
	v_add_co_u32_e64 v4, s[0:1], s5, v3
	v_add_u32_e32 v3, s28, v3
	v_addc_co_u32_e64 v5, s[0:1], v2, v6, s[0:1]
	v_cmp_le_i32_e64 s[0:1], s21, v3
	s_or_b64 s[8:9], s[0:1], s[8:9]
	s_waitcnt vmcnt(0)
	global_store_byte v[4:5], v7, off
	s_andn2_b64 exec, exec, s[8:9]
	s_cbranch_execnz .LBB48_8
	s_branch .LBB48_5
.LBB48_9:
	s_endpgm
	.section	.rodata,"a",@progbits
	.p2align	6, 0x0
	.amdhsa_kernel _ZN4vllm15cp_gather_cacheIhEEvPKT_PS1_PKiS6_iillllS6_
		.amdhsa_group_segment_fixed_size 0
		.amdhsa_private_segment_fixed_size 0
		.amdhsa_kernarg_size 336
		.amdhsa_user_sgpr_count 6
		.amdhsa_user_sgpr_private_segment_buffer 1
		.amdhsa_user_sgpr_dispatch_ptr 0
		.amdhsa_user_sgpr_queue_ptr 0
		.amdhsa_user_sgpr_kernarg_segment_ptr 1
		.amdhsa_user_sgpr_dispatch_id 0
		.amdhsa_user_sgpr_flat_scratch_init 0
		.amdhsa_user_sgpr_private_segment_size 0
		.amdhsa_uses_dynamic_stack 0
		.amdhsa_system_sgpr_private_segment_wavefront_offset 0
		.amdhsa_system_sgpr_workgroup_id_x 1
		.amdhsa_system_sgpr_workgroup_id_y 1
		.amdhsa_system_sgpr_workgroup_id_z 0
		.amdhsa_system_sgpr_workgroup_info 0
		.amdhsa_system_vgpr_workitem_id 0
		.amdhsa_next_free_vgpr 8
		.amdhsa_next_free_sgpr 30
		.amdhsa_reserve_vcc 1
		.amdhsa_reserve_flat_scratch 0
		.amdhsa_float_round_mode_32 0
		.amdhsa_float_round_mode_16_64 0
		.amdhsa_float_denorm_mode_32 3
		.amdhsa_float_denorm_mode_16_64 3
		.amdhsa_dx10_clamp 1
		.amdhsa_ieee_mode 1
		.amdhsa_fp16_overflow 0
		.amdhsa_exception_fp_ieee_invalid_op 0
		.amdhsa_exception_fp_denorm_src 0
		.amdhsa_exception_fp_ieee_div_zero 0
		.amdhsa_exception_fp_ieee_overflow 0
		.amdhsa_exception_fp_ieee_underflow 0
		.amdhsa_exception_fp_ieee_inexact 0
		.amdhsa_exception_int_div_zero 0
	.end_amdhsa_kernel
	.section	.text._ZN4vllm15cp_gather_cacheIhEEvPKT_PS1_PKiS6_iillllS6_,"axG",@progbits,_ZN4vllm15cp_gather_cacheIhEEvPKT_PS1_PKiS6_iillllS6_,comdat
.Lfunc_end48:
	.size	_ZN4vllm15cp_gather_cacheIhEEvPKT_PS1_PKiS6_iillllS6_, .Lfunc_end48-_ZN4vllm15cp_gather_cacheIhEEvPKT_PS1_PKiS6_iillllS6_
                                        ; -- End function
	.set _ZN4vllm15cp_gather_cacheIhEEvPKT_PS1_PKiS6_iillllS6_.num_vgpr, 8
	.set _ZN4vllm15cp_gather_cacheIhEEvPKT_PS1_PKiS6_iillllS6_.num_agpr, 0
	.set _ZN4vllm15cp_gather_cacheIhEEvPKT_PS1_PKiS6_iillllS6_.numbered_sgpr, 30
	.set _ZN4vllm15cp_gather_cacheIhEEvPKT_PS1_PKiS6_iillllS6_.num_named_barrier, 0
	.set _ZN4vllm15cp_gather_cacheIhEEvPKT_PS1_PKiS6_iillllS6_.private_seg_size, 0
	.set _ZN4vllm15cp_gather_cacheIhEEvPKT_PS1_PKiS6_iillllS6_.uses_vcc, 1
	.set _ZN4vllm15cp_gather_cacheIhEEvPKT_PS1_PKiS6_iillllS6_.uses_flat_scratch, 0
	.set _ZN4vllm15cp_gather_cacheIhEEvPKT_PS1_PKiS6_iillllS6_.has_dyn_sized_stack, 0
	.set _ZN4vllm15cp_gather_cacheIhEEvPKT_PS1_PKiS6_iillllS6_.has_recursion, 0
	.set _ZN4vllm15cp_gather_cacheIhEEvPKT_PS1_PKiS6_iillllS6_.has_indirect_call, 0
	.section	.AMDGPU.csdata,"",@progbits
; Kernel info:
; codeLenInByte = 784
; TotalNumSgprs: 34
; NumVgprs: 8
; ScratchSize: 0
; MemoryBound: 0
; FloatMode: 240
; IeeeMode: 1
; LDSByteSize: 0 bytes/workgroup (compile time only)
; SGPRBlocks: 4
; VGPRBlocks: 1
; NumSGPRsForWavesPerEU: 34
; NumVGPRsForWavesPerEU: 8
; Occupancy: 10
; WaveLimiterHint : 1
; COMPUTE_PGM_RSRC2:SCRATCH_EN: 0
; COMPUTE_PGM_RSRC2:USER_SGPR: 6
; COMPUTE_PGM_RSRC2:TRAP_HANDLER: 0
; COMPUTE_PGM_RSRC2:TGID_X_EN: 1
; COMPUTE_PGM_RSRC2:TGID_Y_EN: 1
; COMPUTE_PGM_RSRC2:TGID_Z_EN: 0
; COMPUTE_PGM_RSRC2:TIDIG_COMP_CNT: 0
	.section	.AMDGPU.gpr_maximums,"",@progbits
	.set amdgpu.max_num_vgpr, 41
	.set amdgpu.max_num_agpr, 0
	.set amdgpu.max_num_sgpr, 34
	.section	.AMDGPU.csdata,"",@progbits
	.type	__const.__assert_fail.fmt,@object ; @__const.__assert_fail.fmt
	.section	.rodata.str1.16,"aMS",@progbits,1
	.p2align	4, 0x0
__const.__assert_fail.fmt:
	.asciz	"%s:%u: %s: Device-side assertion `%s' failed.\n"
	.size	__const.__assert_fail.fmt, 47

	.type	.str,@object                    ; @.str
	.section	.rodata.str1.1,"aMS",@progbits,1
.str:
	.asciz	"false"
	.size	.str, 6

	.type	.str.1,@object                  ; @.str.1
.str.1:
	.asciz	"/root/src/amdgpu-assembly/repos/ROCm__vllm/csrc/quantization/fp8/amd/quant_utils_hip.cuh"
	.size	.str.1, 89

	.type	__PRETTY_FUNCTION__._ZN4vllm3fp814scaled_convertIhfLNS_18Fp8KVCacheDataTypeE0EEET_RKT0_f,@object ; @__PRETTY_FUNCTION__._ZN4vllm3fp814scaled_convertIhfLNS_18Fp8KVCacheDataTypeE0EEET_RKT0_f
__PRETTY_FUNCTION__._ZN4vllm3fp814scaled_convertIhfLNS_18Fp8KVCacheDataTypeE0EEET_RKT0_f:
	.asciz	"Tout vllm::fp8::scaled_convert(const Tin &, const float) [Tout = unsigned char, Tin = float, kv_dt = vllm::Fp8KVCacheDataType::kAuto]"
	.size	__PRETTY_FUNCTION__._ZN4vllm3fp814scaled_convertIhfLNS_18Fp8KVCacheDataTypeE0EEET_RKT0_f, 134

	.type	__PRETTY_FUNCTION__._ZN4vllm3fp814scaled_convertIhtLNS_18Fp8KVCacheDataTypeE0EEET_RKT0_f,@object ; @__PRETTY_FUNCTION__._ZN4vllm3fp814scaled_convertIhtLNS_18Fp8KVCacheDataTypeE0EEET_RKT0_f
__PRETTY_FUNCTION__._ZN4vllm3fp814scaled_convertIhtLNS_18Fp8KVCacheDataTypeE0EEET_RKT0_f:
	.asciz	"Tout vllm::fp8::scaled_convert(const Tin &, const float) [Tout = unsigned char, Tin = unsigned short, kv_dt = vllm::Fp8KVCacheDataType::kAuto]"
	.size	__PRETTY_FUNCTION__._ZN4vllm3fp814scaled_convertIhtLNS_18Fp8KVCacheDataTypeE0EEET_RKT0_f, 143

	.type	__PRETTY_FUNCTION__._ZN4vllm3fp814scaled_convertIh14__hip_bfloat16LNS_18Fp8KVCacheDataTypeE0EEET_RKT0_f,@object ; @__PRETTY_FUNCTION__._ZN4vllm3fp814scaled_convertIh14__hip_bfloat16LNS_18Fp8KVCacheDataTypeE0EEET_RKT0_f
__PRETTY_FUNCTION__._ZN4vllm3fp814scaled_convertIh14__hip_bfloat16LNS_18Fp8KVCacheDataTypeE0EEET_RKT0_f:
	.asciz	"Tout vllm::fp8::scaled_convert(const Tin &, const float) [Tout = unsigned char, Tin = __hip_bfloat16, kv_dt = vllm::Fp8KVCacheDataType::kAuto]"
	.size	__PRETTY_FUNCTION__._ZN4vllm3fp814scaled_convertIh14__hip_bfloat16LNS_18Fp8KVCacheDataTypeE0EEET_RKT0_f, 143

	.type	__PRETTY_FUNCTION__._ZN4vllm3fp814scaled_convertIfhLNS_18Fp8KVCacheDataTypeE0EEET_RKT0_f,@object ; @__PRETTY_FUNCTION__._ZN4vllm3fp814scaled_convertIfhLNS_18Fp8KVCacheDataTypeE0EEET_RKT0_f
__PRETTY_FUNCTION__._ZN4vllm3fp814scaled_convertIfhLNS_18Fp8KVCacheDataTypeE0EEET_RKT0_f:
	.asciz	"Tout vllm::fp8::scaled_convert(const Tin &, const float) [Tout = float, Tin = unsigned char, kv_dt = vllm::Fp8KVCacheDataType::kAuto]"
	.size	__PRETTY_FUNCTION__._ZN4vllm3fp814scaled_convertIfhLNS_18Fp8KVCacheDataTypeE0EEET_RKT0_f, 134

	.type	__PRETTY_FUNCTION__._ZN4vllm3fp814scaled_convertIthLNS_18Fp8KVCacheDataTypeE0EEET_RKT0_f,@object ; @__PRETTY_FUNCTION__._ZN4vllm3fp814scaled_convertIthLNS_18Fp8KVCacheDataTypeE0EEET_RKT0_f
__PRETTY_FUNCTION__._ZN4vllm3fp814scaled_convertIthLNS_18Fp8KVCacheDataTypeE0EEET_RKT0_f:
	.asciz	"Tout vllm::fp8::scaled_convert(const Tin &, const float) [Tout = unsigned short, Tin = unsigned char, kv_dt = vllm::Fp8KVCacheDataType::kAuto]"
	.size	__PRETTY_FUNCTION__._ZN4vllm3fp814scaled_convertIthLNS_18Fp8KVCacheDataTypeE0EEET_RKT0_f, 143

	.type	__PRETTY_FUNCTION__._ZN4vllm3fp814scaled_convertI14__hip_bfloat16hLNS_18Fp8KVCacheDataTypeE0EEET_RKT0_f,@object ; @__PRETTY_FUNCTION__._ZN4vllm3fp814scaled_convertI14__hip_bfloat16hLNS_18Fp8KVCacheDataTypeE0EEET_RKT0_f
__PRETTY_FUNCTION__._ZN4vllm3fp814scaled_convertI14__hip_bfloat16hLNS_18Fp8KVCacheDataTypeE0EEET_RKT0_f:
	.asciz	"Tout vllm::fp8::scaled_convert(const Tin &, const float) [Tout = __hip_bfloat16, Tin = unsigned char, kv_dt = vllm::Fp8KVCacheDataType::kAuto]"
	.size	__PRETTY_FUNCTION__._ZN4vllm3fp814scaled_convertI14__hip_bfloat16hLNS_18Fp8KVCacheDataTypeE0EEET_RKT0_f, 143

	.type	__hip_cuid_5b5b19a9a5b05e99,@object ; @__hip_cuid_5b5b19a9a5b05e99
	.section	.bss,"aw",@nobits
	.globl	__hip_cuid_5b5b19a9a5b05e99
__hip_cuid_5b5b19a9a5b05e99:
	.byte	0                               ; 0x0
	.size	__hip_cuid_5b5b19a9a5b05e99, 1

	.ident	"AMD clang version 22.0.0git (https://github.com/RadeonOpenCompute/llvm-project roc-7.2.4 26084 f58b06dce1f9c15707c5f808fd002e18c2accf7e)"
	.section	".note.GNU-stack","",@progbits
	.addrsig
	.addrsig_sym __hip_cuid_5b5b19a9a5b05e99
	.amdgpu_metadata
---
amdhsa.kernels:
  - .args:
      - .address_space:  global
        .offset:         0
        .size:           8
        .value_kind:     global_buffer
      - .address_space:  global
        .offset:         8
        .size:           8
        .value_kind:     global_buffer
      - .actual_access:  read_only
        .address_space:  global
        .offset:         16
        .size:           8
        .value_kind:     global_buffer
      - .offset:         24
        .size:           4
        .value_kind:     by_value
      - .offset:         32
        .size:           4
        .value_kind:     hidden_block_count_x
      - .offset:         36
        .size:           4
        .value_kind:     hidden_block_count_y
      - .offset:         40
        .size:           4
        .value_kind:     hidden_block_count_z
      - .offset:         44
        .size:           2
        .value_kind:     hidden_group_size_x
      - .offset:         46
        .size:           2
        .value_kind:     hidden_group_size_y
      - .offset:         48
        .size:           2
        .value_kind:     hidden_group_size_z
      - .offset:         50
        .size:           2
        .value_kind:     hidden_remainder_x
      - .offset:         52
        .size:           2
        .value_kind:     hidden_remainder_y
      - .offset:         54
        .size:           2
        .value_kind:     hidden_remainder_z
      - .offset:         72
        .size:           8
        .value_kind:     hidden_global_offset_x
      - .offset:         80
        .size:           8
        .value_kind:     hidden_global_offset_y
      - .offset:         88
        .size:           8
        .value_kind:     hidden_global_offset_z
      - .offset:         96
        .size:           2
        .value_kind:     hidden_grid_dims
    .group_segment_fixed_size: 0
    .kernarg_segment_align: 8
    .kernarg_segment_size: 288
    .language:       OpenCL C
    .language_version:
      - 2
      - 0
    .max_flat_workgroup_size: 1024
    .name:           _ZN4vllm18copy_blocks_kernelIfEEvPlS1_PKli
    .private_segment_fixed_size: 0
    .sgpr_count:     24
    .sgpr_spill_count: 0
    .symbol:         _ZN4vllm18copy_blocks_kernelIfEEvPlS1_PKli.kd
    .uniform_work_group_size: 1
    .uses_dynamic_stack: false
    .vgpr_count:     9
    .vgpr_spill_count: 0
    .wavefront_size: 64
  - .args:
      - .address_space:  global
        .offset:         0
        .size:           8
        .value_kind:     global_buffer
      - .address_space:  global
        .offset:         8
        .size:           8
        .value_kind:     global_buffer
      - .actual_access:  read_only
        .address_space:  global
        .offset:         16
        .size:           8
        .value_kind:     global_buffer
      - .offset:         24
        .size:           4
        .value_kind:     by_value
      - .offset:         32
        .size:           4
        .value_kind:     hidden_block_count_x
      - .offset:         36
        .size:           4
        .value_kind:     hidden_block_count_y
      - .offset:         40
        .size:           4
        .value_kind:     hidden_block_count_z
      - .offset:         44
        .size:           2
        .value_kind:     hidden_group_size_x
      - .offset:         46
        .size:           2
        .value_kind:     hidden_group_size_y
      - .offset:         48
        .size:           2
        .value_kind:     hidden_group_size_z
      - .offset:         50
        .size:           2
        .value_kind:     hidden_remainder_x
      - .offset:         52
        .size:           2
        .value_kind:     hidden_remainder_y
      - .offset:         54
        .size:           2
        .value_kind:     hidden_remainder_z
      - .offset:         72
        .size:           8
        .value_kind:     hidden_global_offset_x
      - .offset:         80
        .size:           8
        .value_kind:     hidden_global_offset_y
      - .offset:         88
        .size:           8
        .value_kind:     hidden_global_offset_z
      - .offset:         96
        .size:           2
        .value_kind:     hidden_grid_dims
    .group_segment_fixed_size: 0
    .kernarg_segment_align: 8
    .kernarg_segment_size: 288
    .language:       OpenCL C
    .language_version:
      - 2
      - 0
    .max_flat_workgroup_size: 1024
    .name:           _ZN4vllm18copy_blocks_kernelIN3c104HalfEEEvPlS3_PKli
    .private_segment_fixed_size: 0
    .sgpr_count:     24
    .sgpr_spill_count: 0
    .symbol:         _ZN4vllm18copy_blocks_kernelIN3c104HalfEEEvPlS3_PKli.kd
    .uniform_work_group_size: 1
    .uses_dynamic_stack: false
    .vgpr_count:     9
    .vgpr_spill_count: 0
    .wavefront_size: 64
  - .args:
      - .address_space:  global
        .offset:         0
        .size:           8
        .value_kind:     global_buffer
      - .address_space:  global
        .offset:         8
        .size:           8
        .value_kind:     global_buffer
      - .actual_access:  read_only
        .address_space:  global
        .offset:         16
        .size:           8
        .value_kind:     global_buffer
      - .offset:         24
        .size:           4
        .value_kind:     by_value
      - .offset:         32
        .size:           4
        .value_kind:     hidden_block_count_x
      - .offset:         36
        .size:           4
        .value_kind:     hidden_block_count_y
      - .offset:         40
        .size:           4
        .value_kind:     hidden_block_count_z
      - .offset:         44
        .size:           2
        .value_kind:     hidden_group_size_x
      - .offset:         46
        .size:           2
        .value_kind:     hidden_group_size_y
      - .offset:         48
        .size:           2
        .value_kind:     hidden_group_size_z
      - .offset:         50
        .size:           2
        .value_kind:     hidden_remainder_x
      - .offset:         52
        .size:           2
        .value_kind:     hidden_remainder_y
      - .offset:         54
        .size:           2
        .value_kind:     hidden_remainder_z
      - .offset:         72
        .size:           8
        .value_kind:     hidden_global_offset_x
      - .offset:         80
        .size:           8
        .value_kind:     hidden_global_offset_y
      - .offset:         88
        .size:           8
        .value_kind:     hidden_global_offset_z
      - .offset:         96
        .size:           2
        .value_kind:     hidden_grid_dims
    .group_segment_fixed_size: 0
    .kernarg_segment_align: 8
    .kernarg_segment_size: 288
    .language:       OpenCL C
    .language_version:
      - 2
      - 0
    .max_flat_workgroup_size: 1024
    .name:           _ZN4vllm18copy_blocks_kernelIN3c108BFloat16EEEvPlS3_PKli
    .private_segment_fixed_size: 0
    .sgpr_count:     24
    .sgpr_spill_count: 0
    .symbol:         _ZN4vllm18copy_blocks_kernelIN3c108BFloat16EEEvPlS3_PKli.kd
    .uniform_work_group_size: 1
    .uses_dynamic_stack: false
    .vgpr_count:     9
    .vgpr_spill_count: 0
    .wavefront_size: 64
  - .args:
      - .address_space:  global
        .offset:         0
        .size:           8
        .value_kind:     global_buffer
      - .address_space:  global
        .offset:         8
        .size:           8
        .value_kind:     global_buffer
      - .actual_access:  read_only
        .address_space:  global
        .offset:         16
        .size:           8
        .value_kind:     global_buffer
      - .offset:         24
        .size:           4
        .value_kind:     by_value
      - .offset:         32
        .size:           4
        .value_kind:     hidden_block_count_x
      - .offset:         36
        .size:           4
        .value_kind:     hidden_block_count_y
      - .offset:         40
        .size:           4
        .value_kind:     hidden_block_count_z
      - .offset:         44
        .size:           2
        .value_kind:     hidden_group_size_x
      - .offset:         46
        .size:           2
        .value_kind:     hidden_group_size_y
      - .offset:         48
        .size:           2
        .value_kind:     hidden_group_size_z
      - .offset:         50
        .size:           2
        .value_kind:     hidden_remainder_x
      - .offset:         52
        .size:           2
        .value_kind:     hidden_remainder_y
      - .offset:         54
        .size:           2
        .value_kind:     hidden_remainder_z
      - .offset:         72
        .size:           8
        .value_kind:     hidden_global_offset_x
      - .offset:         80
        .size:           8
        .value_kind:     hidden_global_offset_y
      - .offset:         88
        .size:           8
        .value_kind:     hidden_global_offset_z
      - .offset:         96
        .size:           2
        .value_kind:     hidden_grid_dims
    .group_segment_fixed_size: 0
    .kernarg_segment_align: 8
    .kernarg_segment_size: 288
    .language:       OpenCL C
    .language_version:
      - 2
      - 0
    .max_flat_workgroup_size: 1024
    .name:           _ZN4vllm18copy_blocks_kernelIhEEvPlS1_PKli
    .private_segment_fixed_size: 0
    .sgpr_count:     24
    .sgpr_spill_count: 0
    .symbol:         _ZN4vllm18copy_blocks_kernelIhEEvPlS1_PKli.kd
    .uniform_work_group_size: 1
    .uses_dynamic_stack: false
    .vgpr_count:     8
    .vgpr_spill_count: 0
    .wavefront_size: 64
  - .args:
      - .address_space:  global
        .offset:         0
        .size:           8
        .value_kind:     global_buffer
      - .actual_access:  read_only
        .address_space:  global
        .offset:         8
        .size:           8
        .value_kind:     global_buffer
      - .offset:         16
        .size:           4
        .value_kind:     by_value
      - .offset:         24
        .size:           4
        .value_kind:     hidden_block_count_x
      - .offset:         28
        .size:           4
        .value_kind:     hidden_block_count_y
      - .offset:         32
        .size:           4
        .value_kind:     hidden_block_count_z
      - .offset:         36
        .size:           2
        .value_kind:     hidden_group_size_x
      - .offset:         38
        .size:           2
        .value_kind:     hidden_group_size_y
      - .offset:         40
        .size:           2
        .value_kind:     hidden_group_size_z
      - .offset:         42
        .size:           2
        .value_kind:     hidden_remainder_x
      - .offset:         44
        .size:           2
        .value_kind:     hidden_remainder_y
      - .offset:         46
        .size:           2
        .value_kind:     hidden_remainder_z
      - .offset:         64
        .size:           8
        .value_kind:     hidden_global_offset_x
      - .offset:         72
        .size:           8
        .value_kind:     hidden_global_offset_y
      - .offset:         80
        .size:           8
        .value_kind:     hidden_global_offset_z
      - .offset:         88
        .size:           2
        .value_kind:     hidden_grid_dims
    .group_segment_fixed_size: 0
    .kernarg_segment_align: 8
    .kernarg_segment_size: 280
    .language:       OpenCL C
    .language_version:
      - 2
      - 0
    .max_flat_workgroup_size: 1024
    .name:           _ZN4vllm22copy_blocks_mla_kernelIfEEvPlPKli
    .private_segment_fixed_size: 0
    .sgpr_count:     20
    .sgpr_spill_count: 0
    .symbol:         _ZN4vllm22copy_blocks_mla_kernelIfEEvPlPKli.kd
    .uniform_work_group_size: 1
    .uses_dynamic_stack: false
    .vgpr_count:     8
    .vgpr_spill_count: 0
    .wavefront_size: 64
  - .args:
      - .address_space:  global
        .offset:         0
        .size:           8
        .value_kind:     global_buffer
      - .actual_access:  read_only
        .address_space:  global
        .offset:         8
        .size:           8
        .value_kind:     global_buffer
      - .offset:         16
        .size:           4
        .value_kind:     by_value
      - .offset:         24
        .size:           4
        .value_kind:     hidden_block_count_x
      - .offset:         28
        .size:           4
        .value_kind:     hidden_block_count_y
      - .offset:         32
        .size:           4
        .value_kind:     hidden_block_count_z
      - .offset:         36
        .size:           2
        .value_kind:     hidden_group_size_x
      - .offset:         38
        .size:           2
        .value_kind:     hidden_group_size_y
      - .offset:         40
        .size:           2
        .value_kind:     hidden_group_size_z
      - .offset:         42
        .size:           2
        .value_kind:     hidden_remainder_x
      - .offset:         44
        .size:           2
        .value_kind:     hidden_remainder_y
      - .offset:         46
        .size:           2
        .value_kind:     hidden_remainder_z
      - .offset:         64
        .size:           8
        .value_kind:     hidden_global_offset_x
      - .offset:         72
        .size:           8
        .value_kind:     hidden_global_offset_y
      - .offset:         80
        .size:           8
        .value_kind:     hidden_global_offset_z
      - .offset:         88
        .size:           2
        .value_kind:     hidden_grid_dims
    .group_segment_fixed_size: 0
    .kernarg_segment_align: 8
    .kernarg_segment_size: 280
    .language:       OpenCL C
    .language_version:
      - 2
      - 0
    .max_flat_workgroup_size: 1024
    .name:           _ZN4vllm22copy_blocks_mla_kernelIN3c104HalfEEEvPlPKli
    .private_segment_fixed_size: 0
    .sgpr_count:     20
    .sgpr_spill_count: 0
    .symbol:         _ZN4vllm22copy_blocks_mla_kernelIN3c104HalfEEEvPlPKli.kd
    .uniform_work_group_size: 1
    .uses_dynamic_stack: false
    .vgpr_count:     8
    .vgpr_spill_count: 0
    .wavefront_size: 64
  - .args:
      - .address_space:  global
        .offset:         0
        .size:           8
        .value_kind:     global_buffer
      - .actual_access:  read_only
        .address_space:  global
        .offset:         8
        .size:           8
        .value_kind:     global_buffer
      - .offset:         16
        .size:           4
        .value_kind:     by_value
      - .offset:         24
        .size:           4
        .value_kind:     hidden_block_count_x
      - .offset:         28
        .size:           4
        .value_kind:     hidden_block_count_y
      - .offset:         32
        .size:           4
        .value_kind:     hidden_block_count_z
      - .offset:         36
        .size:           2
        .value_kind:     hidden_group_size_x
      - .offset:         38
        .size:           2
        .value_kind:     hidden_group_size_y
      - .offset:         40
        .size:           2
        .value_kind:     hidden_group_size_z
      - .offset:         42
        .size:           2
        .value_kind:     hidden_remainder_x
      - .offset:         44
        .size:           2
        .value_kind:     hidden_remainder_y
      - .offset:         46
        .size:           2
        .value_kind:     hidden_remainder_z
      - .offset:         64
        .size:           8
        .value_kind:     hidden_global_offset_x
      - .offset:         72
        .size:           8
        .value_kind:     hidden_global_offset_y
      - .offset:         80
        .size:           8
        .value_kind:     hidden_global_offset_z
      - .offset:         88
        .size:           2
        .value_kind:     hidden_grid_dims
    .group_segment_fixed_size: 0
    .kernarg_segment_align: 8
    .kernarg_segment_size: 280
    .language:       OpenCL C
    .language_version:
      - 2
      - 0
    .max_flat_workgroup_size: 1024
    .name:           _ZN4vllm22copy_blocks_mla_kernelIN3c108BFloat16EEEvPlPKli
    .private_segment_fixed_size: 0
    .sgpr_count:     20
    .sgpr_spill_count: 0
    .symbol:         _ZN4vllm22copy_blocks_mla_kernelIN3c108BFloat16EEEvPlPKli.kd
    .uniform_work_group_size: 1
    .uses_dynamic_stack: false
    .vgpr_count:     8
    .vgpr_spill_count: 0
    .wavefront_size: 64
  - .args:
      - .address_space:  global
        .offset:         0
        .size:           8
        .value_kind:     global_buffer
      - .actual_access:  read_only
        .address_space:  global
        .offset:         8
        .size:           8
        .value_kind:     global_buffer
      - .offset:         16
        .size:           4
        .value_kind:     by_value
      - .offset:         24
        .size:           4
        .value_kind:     hidden_block_count_x
      - .offset:         28
        .size:           4
        .value_kind:     hidden_block_count_y
      - .offset:         32
        .size:           4
        .value_kind:     hidden_block_count_z
      - .offset:         36
        .size:           2
        .value_kind:     hidden_group_size_x
      - .offset:         38
        .size:           2
        .value_kind:     hidden_group_size_y
      - .offset:         40
        .size:           2
        .value_kind:     hidden_group_size_z
      - .offset:         42
        .size:           2
        .value_kind:     hidden_remainder_x
      - .offset:         44
        .size:           2
        .value_kind:     hidden_remainder_y
      - .offset:         46
        .size:           2
        .value_kind:     hidden_remainder_z
      - .offset:         64
        .size:           8
        .value_kind:     hidden_global_offset_x
      - .offset:         72
        .size:           8
        .value_kind:     hidden_global_offset_y
      - .offset:         80
        .size:           8
        .value_kind:     hidden_global_offset_z
      - .offset:         88
        .size:           2
        .value_kind:     hidden_grid_dims
    .group_segment_fixed_size: 0
    .kernarg_segment_align: 8
    .kernarg_segment_size: 280
    .language:       OpenCL C
    .language_version:
      - 2
      - 0
    .max_flat_workgroup_size: 1024
    .name:           _ZN4vllm22copy_blocks_mla_kernelIhEEvPlPKli
    .private_segment_fixed_size: 0
    .sgpr_count:     20
    .sgpr_spill_count: 0
    .symbol:         _ZN4vllm22copy_blocks_mla_kernelIhEEvPlPKli.kd
    .uniform_work_group_size: 1
    .uses_dynamic_stack: false
    .vgpr_count:     7
    .vgpr_spill_count: 0
    .wavefront_size: 64
  - .args:
      - .actual_access:  read_only
        .address_space:  global
        .offset:         0
        .size:           8
        .value_kind:     global_buffer
      - .actual_access:  read_only
        .address_space:  global
        .offset:         8
        .size:           8
        .value_kind:     global_buffer
      - .actual_access:  write_only
        .address_space:  global
        .offset:         16
        .size:           8
        .value_kind:     global_buffer
      - .actual_access:  write_only
        .address_space:  global
        .offset:         24
        .size:           8
        .value_kind:     global_buffer
      - .actual_access:  read_only
        .address_space:  global
        .offset:         32
        .size:           8
        .value_kind:     global_buffer
      - .offset:         40
        .size:           4
        .value_kind:     by_value
      - .offset:         44
        .size:           4
        .value_kind:     by_value
      - .offset:         48
        .size:           4
        .value_kind:     by_value
      - .offset:         52
        .size:           4
        .value_kind:     by_value
      - .offset:         56
        .size:           4
        .value_kind:     by_value
      - .offset:         60
        .size:           4
        .value_kind:     by_value
      - .address_space:  global
        .offset:         64
        .size:           8
        .value_kind:     global_buffer
      - .address_space:  global
        .offset:         72
        .size:           8
        .value_kind:     global_buffer
      - .offset:         80
        .size:           4
        .value_kind:     hidden_block_count_x
      - .offset:         84
        .size:           4
        .value_kind:     hidden_block_count_y
      - .offset:         88
        .size:           4
        .value_kind:     hidden_block_count_z
      - .offset:         92
        .size:           2
        .value_kind:     hidden_group_size_x
      - .offset:         94
        .size:           2
        .value_kind:     hidden_group_size_y
      - .offset:         96
        .size:           2
        .value_kind:     hidden_group_size_z
      - .offset:         98
        .size:           2
        .value_kind:     hidden_remainder_x
      - .offset:         100
        .size:           2
        .value_kind:     hidden_remainder_y
      - .offset:         102
        .size:           2
        .value_kind:     hidden_remainder_z
      - .offset:         120
        .size:           8
        .value_kind:     hidden_global_offset_x
      - .offset:         128
        .size:           8
        .value_kind:     hidden_global_offset_y
      - .offset:         136
        .size:           8
        .value_kind:     hidden_global_offset_z
      - .offset:         144
        .size:           2
        .value_kind:     hidden_grid_dims
    .group_segment_fixed_size: 0
    .kernarg_segment_align: 8
    .kernarg_segment_size: 336
    .language:       OpenCL C
    .language_version:
      - 2
      - 0
    .max_flat_workgroup_size: 1024
    .name:           _ZN4vllm24reshape_and_cache_kernelIffLNS_18Fp8KVCacheDataTypeE0EEEvPKT_S4_PT0_S6_PKliiiiiiPKfSA_
    .private_segment_fixed_size: 0
    .sgpr_count:     39
    .sgpr_spill_count: 0
    .symbol:         _ZN4vllm24reshape_and_cache_kernelIffLNS_18Fp8KVCacheDataTypeE0EEEvPKT_S4_PT0_S6_PKliiiiiiPKfSA_.kd
    .uniform_work_group_size: 1
    .uses_dynamic_stack: false
    .vgpr_count:     20
    .vgpr_spill_count: 0
    .wavefront_size: 64
  - .args:
      - .actual_access:  read_only
        .address_space:  global
        .offset:         0
        .size:           8
        .value_kind:     global_buffer
      - .actual_access:  read_only
        .address_space:  global
        .offset:         8
        .size:           8
        .value_kind:     global_buffer
      - .actual_access:  write_only
        .address_space:  global
        .offset:         16
        .size:           8
        .value_kind:     global_buffer
      - .actual_access:  write_only
        .address_space:  global
        .offset:         24
        .size:           8
        .value_kind:     global_buffer
      - .actual_access:  read_only
        .address_space:  global
        .offset:         32
        .size:           8
        .value_kind:     global_buffer
      - .offset:         40
        .size:           4
        .value_kind:     by_value
      - .offset:         44
        .size:           4
        .value_kind:     by_value
      - .offset:         48
        .size:           4
        .value_kind:     by_value
      - .offset:         52
        .size:           4
        .value_kind:     by_value
      - .offset:         56
        .size:           4
        .value_kind:     by_value
      - .offset:         60
        .size:           4
        .value_kind:     by_value
      - .address_space:  global
        .offset:         64
        .size:           8
        .value_kind:     global_buffer
      - .address_space:  global
        .offset:         72
        .size:           8
        .value_kind:     global_buffer
      - .offset:         80
        .size:           4
        .value_kind:     hidden_block_count_x
      - .offset:         84
        .size:           4
        .value_kind:     hidden_block_count_y
      - .offset:         88
        .size:           4
        .value_kind:     hidden_block_count_z
      - .offset:         92
        .size:           2
        .value_kind:     hidden_group_size_x
      - .offset:         94
        .size:           2
        .value_kind:     hidden_group_size_y
      - .offset:         96
        .size:           2
        .value_kind:     hidden_group_size_z
      - .offset:         98
        .size:           2
        .value_kind:     hidden_remainder_x
      - .offset:         100
        .size:           2
        .value_kind:     hidden_remainder_y
      - .offset:         102
        .size:           2
        .value_kind:     hidden_remainder_z
      - .offset:         120
        .size:           8
        .value_kind:     hidden_global_offset_x
      - .offset:         128
        .size:           8
        .value_kind:     hidden_global_offset_y
      - .offset:         136
        .size:           8
        .value_kind:     hidden_global_offset_z
      - .offset:         144
        .size:           2
        .value_kind:     hidden_grid_dims
    .group_segment_fixed_size: 0
    .kernarg_segment_align: 8
    .kernarg_segment_size: 336
    .language:       OpenCL C
    .language_version:
      - 2
      - 0
    .max_flat_workgroup_size: 1024
    .name:           _ZN4vllm24reshape_and_cache_kernelIttLNS_18Fp8KVCacheDataTypeE0EEEvPKT_S4_PT0_S6_PKliiiiiiPKfSA_
    .private_segment_fixed_size: 0
    .sgpr_count:     39
    .sgpr_spill_count: 0
    .symbol:         _ZN4vllm24reshape_and_cache_kernelIttLNS_18Fp8KVCacheDataTypeE0EEEvPKT_S4_PT0_S6_PKliiiiiiPKfSA_.kd
    .uniform_work_group_size: 1
    .uses_dynamic_stack: false
    .vgpr_count:     20
    .vgpr_spill_count: 0
    .wavefront_size: 64
  - .args:
      - .actual_access:  read_only
        .address_space:  global
        .offset:         0
        .size:           8
        .value_kind:     global_buffer
      - .actual_access:  read_only
        .address_space:  global
        .offset:         8
        .size:           8
        .value_kind:     global_buffer
      - .actual_access:  write_only
        .address_space:  global
        .offset:         16
        .size:           8
        .value_kind:     global_buffer
      - .actual_access:  write_only
        .address_space:  global
        .offset:         24
        .size:           8
        .value_kind:     global_buffer
      - .actual_access:  read_only
        .address_space:  global
        .offset:         32
        .size:           8
        .value_kind:     global_buffer
      - .offset:         40
        .size:           4
        .value_kind:     by_value
      - .offset:         44
        .size:           4
        .value_kind:     by_value
      - .offset:         48
        .size:           4
        .value_kind:     by_value
      - .offset:         52
        .size:           4
        .value_kind:     by_value
      - .offset:         56
        .size:           4
        .value_kind:     by_value
      - .offset:         60
        .size:           4
        .value_kind:     by_value
      - .address_space:  global
        .offset:         64
        .size:           8
        .value_kind:     global_buffer
      - .address_space:  global
        .offset:         72
        .size:           8
        .value_kind:     global_buffer
      - .offset:         80
        .size:           4
        .value_kind:     hidden_block_count_x
      - .offset:         84
        .size:           4
        .value_kind:     hidden_block_count_y
      - .offset:         88
        .size:           4
        .value_kind:     hidden_block_count_z
      - .offset:         92
        .size:           2
        .value_kind:     hidden_group_size_x
      - .offset:         94
        .size:           2
        .value_kind:     hidden_group_size_y
      - .offset:         96
        .size:           2
        .value_kind:     hidden_group_size_z
      - .offset:         98
        .size:           2
        .value_kind:     hidden_remainder_x
      - .offset:         100
        .size:           2
        .value_kind:     hidden_remainder_y
      - .offset:         102
        .size:           2
        .value_kind:     hidden_remainder_z
      - .offset:         120
        .size:           8
        .value_kind:     hidden_global_offset_x
      - .offset:         128
        .size:           8
        .value_kind:     hidden_global_offset_y
      - .offset:         136
        .size:           8
        .value_kind:     hidden_global_offset_z
      - .offset:         144
        .size:           2
        .value_kind:     hidden_grid_dims
    .group_segment_fixed_size: 0
    .kernarg_segment_align: 8
    .kernarg_segment_size: 336
    .language:       OpenCL C
    .language_version:
      - 2
      - 0
    .max_flat_workgroup_size: 1024
    .name:           _ZN4vllm24reshape_and_cache_kernelI14__hip_bfloat16S1_LNS_18Fp8KVCacheDataTypeE0EEEvPKT_S5_PT0_S7_PKliiiiiiPKfSB_
    .private_segment_fixed_size: 0
    .sgpr_count:     39
    .sgpr_spill_count: 0
    .symbol:         _ZN4vllm24reshape_and_cache_kernelI14__hip_bfloat16S1_LNS_18Fp8KVCacheDataTypeE0EEEvPKT_S5_PT0_S7_PKliiiiiiPKfSB_.kd
    .uniform_work_group_size: 1
    .uses_dynamic_stack: false
    .vgpr_count:     20
    .vgpr_spill_count: 0
    .wavefront_size: 64
  - .args:
      - .actual_access:  read_only
        .address_space:  global
        .offset:         0
        .size:           8
        .value_kind:     global_buffer
      - .actual_access:  read_only
        .address_space:  global
        .offset:         8
        .size:           8
        .value_kind:     global_buffer
      - .actual_access:  write_only
        .address_space:  global
        .offset:         16
        .size:           8
        .value_kind:     global_buffer
      - .actual_access:  write_only
        .address_space:  global
        .offset:         24
        .size:           8
        .value_kind:     global_buffer
      - .actual_access:  read_only
        .address_space:  global
        .offset:         32
        .size:           8
        .value_kind:     global_buffer
      - .offset:         40
        .size:           4
        .value_kind:     by_value
      - .offset:         44
        .size:           4
        .value_kind:     by_value
      - .offset:         48
        .size:           4
        .value_kind:     by_value
      - .offset:         52
        .size:           4
        .value_kind:     by_value
      - .offset:         56
        .size:           4
        .value_kind:     by_value
      - .offset:         60
        .size:           4
        .value_kind:     by_value
      - .address_space:  global
        .offset:         64
        .size:           8
        .value_kind:     global_buffer
      - .address_space:  global
        .offset:         72
        .size:           8
        .value_kind:     global_buffer
      - .offset:         80
        .size:           4
        .value_kind:     hidden_block_count_x
      - .offset:         84
        .size:           4
        .value_kind:     hidden_block_count_y
      - .offset:         88
        .size:           4
        .value_kind:     hidden_block_count_z
      - .offset:         92
        .size:           2
        .value_kind:     hidden_group_size_x
      - .offset:         94
        .size:           2
        .value_kind:     hidden_group_size_y
      - .offset:         96
        .size:           2
        .value_kind:     hidden_group_size_z
      - .offset:         98
        .size:           2
        .value_kind:     hidden_remainder_x
      - .offset:         100
        .size:           2
        .value_kind:     hidden_remainder_y
      - .offset:         102
        .size:           2
        .value_kind:     hidden_remainder_z
      - .offset:         120
        .size:           8
        .value_kind:     hidden_global_offset_x
      - .offset:         128
        .size:           8
        .value_kind:     hidden_global_offset_y
      - .offset:         136
        .size:           8
        .value_kind:     hidden_global_offset_z
      - .offset:         144
        .size:           2
        .value_kind:     hidden_grid_dims
    .group_segment_fixed_size: 0
    .kernarg_segment_align: 8
    .kernarg_segment_size: 336
    .language:       OpenCL C
    .language_version:
      - 2
      - 0
    .max_flat_workgroup_size: 1024
    .name:           _ZN4vllm24reshape_and_cache_kernelIfhLNS_18Fp8KVCacheDataTypeE1EEEvPKT_S4_PT0_S6_PKliiiiiiPKfSA_
    .private_segment_fixed_size: 0
    .sgpr_count:     51
    .sgpr_spill_count: 0
    .symbol:         _ZN4vllm24reshape_and_cache_kernelIfhLNS_18Fp8KVCacheDataTypeE1EEEvPKT_S4_PT0_S6_PKliiiiiiPKfSA_.kd
    .uniform_work_group_size: 1
    .uses_dynamic_stack: false
    .vgpr_count:     20
    .vgpr_spill_count: 0
    .wavefront_size: 64
  - .args:
      - .actual_access:  read_only
        .address_space:  global
        .offset:         0
        .size:           8
        .value_kind:     global_buffer
      - .actual_access:  read_only
        .address_space:  global
        .offset:         8
        .size:           8
        .value_kind:     global_buffer
      - .actual_access:  write_only
        .address_space:  global
        .offset:         16
        .size:           8
        .value_kind:     global_buffer
      - .actual_access:  write_only
        .address_space:  global
        .offset:         24
        .size:           8
        .value_kind:     global_buffer
      - .actual_access:  read_only
        .address_space:  global
        .offset:         32
        .size:           8
        .value_kind:     global_buffer
      - .offset:         40
        .size:           4
        .value_kind:     by_value
      - .offset:         44
        .size:           4
        .value_kind:     by_value
      - .offset:         48
        .size:           4
        .value_kind:     by_value
      - .offset:         52
        .size:           4
        .value_kind:     by_value
      - .offset:         56
        .size:           4
        .value_kind:     by_value
      - .offset:         60
        .size:           4
        .value_kind:     by_value
      - .address_space:  global
        .offset:         64
        .size:           8
        .value_kind:     global_buffer
      - .address_space:  global
        .offset:         72
        .size:           8
        .value_kind:     global_buffer
      - .offset:         80
        .size:           4
        .value_kind:     hidden_block_count_x
      - .offset:         84
        .size:           4
        .value_kind:     hidden_block_count_y
      - .offset:         88
        .size:           4
        .value_kind:     hidden_block_count_z
      - .offset:         92
        .size:           2
        .value_kind:     hidden_group_size_x
      - .offset:         94
        .size:           2
        .value_kind:     hidden_group_size_y
      - .offset:         96
        .size:           2
        .value_kind:     hidden_group_size_z
      - .offset:         98
        .size:           2
        .value_kind:     hidden_remainder_x
      - .offset:         100
        .size:           2
        .value_kind:     hidden_remainder_y
      - .offset:         102
        .size:           2
        .value_kind:     hidden_remainder_z
      - .offset:         120
        .size:           8
        .value_kind:     hidden_global_offset_x
      - .offset:         128
        .size:           8
        .value_kind:     hidden_global_offset_y
      - .offset:         136
        .size:           8
        .value_kind:     hidden_global_offset_z
      - .offset:         144
        .size:           2
        .value_kind:     hidden_grid_dims
    .group_segment_fixed_size: 0
    .kernarg_segment_align: 8
    .kernarg_segment_size: 336
    .language:       OpenCL C
    .language_version:
      - 2
      - 0
    .max_flat_workgroup_size: 1024
    .name:           _ZN4vllm24reshape_and_cache_kernelIthLNS_18Fp8KVCacheDataTypeE1EEEvPKT_S4_PT0_S6_PKliiiiiiPKfSA_
    .private_segment_fixed_size: 0
    .sgpr_count:     51
    .sgpr_spill_count: 0
    .symbol:         _ZN4vllm24reshape_and_cache_kernelIthLNS_18Fp8KVCacheDataTypeE1EEEvPKT_S4_PT0_S6_PKliiiiiiPKfSA_.kd
    .uniform_work_group_size: 1
    .uses_dynamic_stack: false
    .vgpr_count:     20
    .vgpr_spill_count: 0
    .wavefront_size: 64
  - .args:
      - .actual_access:  read_only
        .address_space:  global
        .offset:         0
        .size:           8
        .value_kind:     global_buffer
      - .actual_access:  read_only
        .address_space:  global
        .offset:         8
        .size:           8
        .value_kind:     global_buffer
      - .actual_access:  write_only
        .address_space:  global
        .offset:         16
        .size:           8
        .value_kind:     global_buffer
      - .actual_access:  write_only
        .address_space:  global
        .offset:         24
        .size:           8
        .value_kind:     global_buffer
      - .actual_access:  read_only
        .address_space:  global
        .offset:         32
        .size:           8
        .value_kind:     global_buffer
      - .offset:         40
        .size:           4
        .value_kind:     by_value
      - .offset:         44
        .size:           4
        .value_kind:     by_value
      - .offset:         48
        .size:           4
        .value_kind:     by_value
      - .offset:         52
        .size:           4
        .value_kind:     by_value
      - .offset:         56
        .size:           4
        .value_kind:     by_value
      - .offset:         60
        .size:           4
        .value_kind:     by_value
      - .address_space:  global
        .offset:         64
        .size:           8
        .value_kind:     global_buffer
      - .address_space:  global
        .offset:         72
        .size:           8
        .value_kind:     global_buffer
      - .offset:         80
        .size:           4
        .value_kind:     hidden_block_count_x
      - .offset:         84
        .size:           4
        .value_kind:     hidden_block_count_y
      - .offset:         88
        .size:           4
        .value_kind:     hidden_block_count_z
      - .offset:         92
        .size:           2
        .value_kind:     hidden_group_size_x
      - .offset:         94
        .size:           2
        .value_kind:     hidden_group_size_y
      - .offset:         96
        .size:           2
        .value_kind:     hidden_group_size_z
      - .offset:         98
        .size:           2
        .value_kind:     hidden_remainder_x
      - .offset:         100
        .size:           2
        .value_kind:     hidden_remainder_y
      - .offset:         102
        .size:           2
        .value_kind:     hidden_remainder_z
      - .offset:         120
        .size:           8
        .value_kind:     hidden_global_offset_x
      - .offset:         128
        .size:           8
        .value_kind:     hidden_global_offset_y
      - .offset:         136
        .size:           8
        .value_kind:     hidden_global_offset_z
      - .offset:         144
        .size:           2
        .value_kind:     hidden_grid_dims
    .group_segment_fixed_size: 0
    .kernarg_segment_align: 8
    .kernarg_segment_size: 336
    .language:       OpenCL C
    .language_version:
      - 2
      - 0
    .max_flat_workgroup_size: 1024
    .name:           _ZN4vllm24reshape_and_cache_kernelI14__hip_bfloat16hLNS_18Fp8KVCacheDataTypeE1EEEvPKT_S5_PT0_S7_PKliiiiiiPKfSB_
    .private_segment_fixed_size: 0
    .sgpr_count:     51
    .sgpr_spill_count: 0
    .symbol:         _ZN4vllm24reshape_and_cache_kernelI14__hip_bfloat16hLNS_18Fp8KVCacheDataTypeE1EEEvPKT_S5_PT0_S7_PKliiiiiiPKfSB_.kd
    .uniform_work_group_size: 1
    .uses_dynamic_stack: false
    .vgpr_count:     20
    .vgpr_spill_count: 0
    .wavefront_size: 64
  - .args:
      - .address_space:  global
        .offset:         0
        .size:           8
        .value_kind:     global_buffer
      - .address_space:  global
        .offset:         8
        .size:           8
        .value_kind:     global_buffer
      - .actual_access:  write_only
        .address_space:  global
        .offset:         16
        .size:           8
        .value_kind:     global_buffer
      - .actual_access:  write_only
        .address_space:  global
        .offset:         24
        .size:           8
        .value_kind:     global_buffer
      - .actual_access:  read_only
        .address_space:  global
        .offset:         32
        .size:           8
        .value_kind:     global_buffer
      - .offset:         40
        .size:           8
        .value_kind:     by_value
      - .offset:         48
        .size:           8
        .value_kind:     by_value
      - .offset:         56
        .size:           8
        .value_kind:     by_value
      - .offset:         64
        .size:           8
        .value_kind:     by_value
      - .offset:         72
        .size:           8
        .value_kind:     by_value
      - .offset:         80
        .size:           4
        .value_kind:     by_value
      - .offset:         84
        .size:           4
        .value_kind:     by_value
      - .offset:         88
        .size:           4
        .value_kind:     by_value
      - .address_space:  global
        .offset:         96
        .size:           8
        .value_kind:     global_buffer
      - .address_space:  global
        .offset:         104
        .size:           8
        .value_kind:     global_buffer
      - .offset:         112
        .size:           4
        .value_kind:     hidden_block_count_x
      - .offset:         116
        .size:           4
        .value_kind:     hidden_block_count_y
      - .offset:         120
        .size:           4
        .value_kind:     hidden_block_count_z
      - .offset:         124
        .size:           2
        .value_kind:     hidden_group_size_x
      - .offset:         126
        .size:           2
        .value_kind:     hidden_group_size_y
      - .offset:         128
        .size:           2
        .value_kind:     hidden_group_size_z
      - .offset:         130
        .size:           2
        .value_kind:     hidden_remainder_x
      - .offset:         132
        .size:           2
        .value_kind:     hidden_remainder_y
      - .offset:         134
        .size:           2
        .value_kind:     hidden_remainder_z
      - .offset:         152
        .size:           8
        .value_kind:     hidden_global_offset_x
      - .offset:         160
        .size:           8
        .value_kind:     hidden_global_offset_y
      - .offset:         168
        .size:           8
        .value_kind:     hidden_global_offset_z
      - .offset:         176
        .size:           2
        .value_kind:     hidden_grid_dims
    .group_segment_fixed_size: 0
    .kernarg_segment_align: 8
    .kernarg_segment_size: 368
    .language:       OpenCL C
    .language_version:
      - 2
      - 0
    .max_flat_workgroup_size: 1024
    .name:           _ZN4vllm30reshape_and_cache_flash_kernelIffLNS_18Fp8KVCacheDataTypeE0EEEvPKT_S4_PT0_S6_PKlllllliiiPKfSA_
    .private_segment_fixed_size: 0
    .sgpr_count:     61
    .sgpr_spill_count: 0
    .symbol:         _ZN4vllm30reshape_and_cache_flash_kernelIffLNS_18Fp8KVCacheDataTypeE0EEEvPKT_S4_PT0_S6_PKlllllliiiPKfSA_.kd
    .uniform_work_group_size: 1
    .uses_dynamic_stack: false
    .vgpr_count:     39
    .vgpr_spill_count: 0
    .wavefront_size: 64
  - .args:
      - .address_space:  global
        .offset:         0
        .size:           8
        .value_kind:     global_buffer
      - .address_space:  global
        .offset:         8
        .size:           8
        .value_kind:     global_buffer
      - .actual_access:  write_only
        .address_space:  global
        .offset:         16
        .size:           8
        .value_kind:     global_buffer
      - .actual_access:  write_only
        .address_space:  global
        .offset:         24
        .size:           8
        .value_kind:     global_buffer
      - .actual_access:  read_only
        .address_space:  global
        .offset:         32
        .size:           8
        .value_kind:     global_buffer
      - .offset:         40
        .size:           8
        .value_kind:     by_value
      - .offset:         48
        .size:           8
        .value_kind:     by_value
      - .offset:         56
        .size:           8
        .value_kind:     by_value
      - .offset:         64
        .size:           8
        .value_kind:     by_value
      - .offset:         72
        .size:           8
        .value_kind:     by_value
      - .offset:         80
        .size:           4
        .value_kind:     by_value
      - .offset:         84
        .size:           4
        .value_kind:     by_value
      - .offset:         88
        .size:           4
        .value_kind:     by_value
      - .address_space:  global
        .offset:         96
        .size:           8
        .value_kind:     global_buffer
      - .address_space:  global
        .offset:         104
        .size:           8
        .value_kind:     global_buffer
      - .offset:         112
        .size:           4
        .value_kind:     hidden_block_count_x
      - .offset:         116
        .size:           4
        .value_kind:     hidden_block_count_y
      - .offset:         120
        .size:           4
        .value_kind:     hidden_block_count_z
      - .offset:         124
        .size:           2
        .value_kind:     hidden_group_size_x
      - .offset:         126
        .size:           2
        .value_kind:     hidden_group_size_y
      - .offset:         128
        .size:           2
        .value_kind:     hidden_group_size_z
      - .offset:         130
        .size:           2
        .value_kind:     hidden_remainder_x
      - .offset:         132
        .size:           2
        .value_kind:     hidden_remainder_y
      - .offset:         134
        .size:           2
        .value_kind:     hidden_remainder_z
      - .offset:         152
        .size:           8
        .value_kind:     hidden_global_offset_x
      - .offset:         160
        .size:           8
        .value_kind:     hidden_global_offset_y
      - .offset:         168
        .size:           8
        .value_kind:     hidden_global_offset_z
      - .offset:         176
        .size:           2
        .value_kind:     hidden_grid_dims
    .group_segment_fixed_size: 0
    .kernarg_segment_align: 8
    .kernarg_segment_size: 368
    .language:       OpenCL C
    .language_version:
      - 2
      - 0
    .max_flat_workgroup_size: 1024
    .name:           _ZN4vllm30reshape_and_cache_flash_kernelIttLNS_18Fp8KVCacheDataTypeE0EEEvPKT_S4_PT0_S6_PKlllllliiiPKfSA_
    .private_segment_fixed_size: 0
    .sgpr_count:     66
    .sgpr_spill_count: 0
    .symbol:         _ZN4vllm30reshape_and_cache_flash_kernelIttLNS_18Fp8KVCacheDataTypeE0EEEvPKT_S4_PT0_S6_PKlllllliiiPKfSA_.kd
    .uniform_work_group_size: 1
    .uses_dynamic_stack: false
    .vgpr_count:     54
    .vgpr_spill_count: 0
    .wavefront_size: 64
  - .args:
      - .address_space:  global
        .offset:         0
        .size:           8
        .value_kind:     global_buffer
      - .address_space:  global
        .offset:         8
        .size:           8
        .value_kind:     global_buffer
      - .actual_access:  write_only
        .address_space:  global
        .offset:         16
        .size:           8
        .value_kind:     global_buffer
      - .actual_access:  write_only
        .address_space:  global
        .offset:         24
        .size:           8
        .value_kind:     global_buffer
      - .actual_access:  read_only
        .address_space:  global
        .offset:         32
        .size:           8
        .value_kind:     global_buffer
      - .offset:         40
        .size:           8
        .value_kind:     by_value
      - .offset:         48
        .size:           8
        .value_kind:     by_value
      - .offset:         56
        .size:           8
        .value_kind:     by_value
      - .offset:         64
        .size:           8
        .value_kind:     by_value
      - .offset:         72
        .size:           8
        .value_kind:     by_value
      - .offset:         80
        .size:           4
        .value_kind:     by_value
      - .offset:         84
        .size:           4
        .value_kind:     by_value
      - .offset:         88
        .size:           4
        .value_kind:     by_value
      - .address_space:  global
        .offset:         96
        .size:           8
        .value_kind:     global_buffer
      - .address_space:  global
        .offset:         104
        .size:           8
        .value_kind:     global_buffer
      - .offset:         112
        .size:           4
        .value_kind:     hidden_block_count_x
      - .offset:         116
        .size:           4
        .value_kind:     hidden_block_count_y
      - .offset:         120
        .size:           4
        .value_kind:     hidden_block_count_z
      - .offset:         124
        .size:           2
        .value_kind:     hidden_group_size_x
      - .offset:         126
        .size:           2
        .value_kind:     hidden_group_size_y
      - .offset:         128
        .size:           2
        .value_kind:     hidden_group_size_z
      - .offset:         130
        .size:           2
        .value_kind:     hidden_remainder_x
      - .offset:         132
        .size:           2
        .value_kind:     hidden_remainder_y
      - .offset:         134
        .size:           2
        .value_kind:     hidden_remainder_z
      - .offset:         152
        .size:           8
        .value_kind:     hidden_global_offset_x
      - .offset:         160
        .size:           8
        .value_kind:     hidden_global_offset_y
      - .offset:         168
        .size:           8
        .value_kind:     hidden_global_offset_z
      - .offset:         176
        .size:           2
        .value_kind:     hidden_grid_dims
    .group_segment_fixed_size: 0
    .kernarg_segment_align: 8
    .kernarg_segment_size: 368
    .language:       OpenCL C
    .language_version:
      - 2
      - 0
    .max_flat_workgroup_size: 1024
    .name:           _ZN4vllm30reshape_and_cache_flash_kernelI14__hip_bfloat16S1_LNS_18Fp8KVCacheDataTypeE0EEEvPKT_S5_PT0_S7_PKlllllliiiPKfSB_
    .private_segment_fixed_size: 0
    .sgpr_count:     66
    .sgpr_spill_count: 0
    .symbol:         _ZN4vllm30reshape_and_cache_flash_kernelI14__hip_bfloat16S1_LNS_18Fp8KVCacheDataTypeE0EEEvPKT_S5_PT0_S7_PKlllllliiiPKfSB_.kd
    .uniform_work_group_size: 1
    .uses_dynamic_stack: false
    .vgpr_count:     54
    .vgpr_spill_count: 0
    .wavefront_size: 64
  - .args:
      - .address_space:  global
        .offset:         0
        .size:           8
        .value_kind:     global_buffer
      - .address_space:  global
        .offset:         8
        .size:           8
        .value_kind:     global_buffer
      - .actual_access:  write_only
        .address_space:  global
        .offset:         16
        .size:           8
        .value_kind:     global_buffer
      - .actual_access:  write_only
        .address_space:  global
        .offset:         24
        .size:           8
        .value_kind:     global_buffer
      - .actual_access:  read_only
        .address_space:  global
        .offset:         32
        .size:           8
        .value_kind:     global_buffer
      - .offset:         40
        .size:           8
        .value_kind:     by_value
      - .offset:         48
        .size:           8
        .value_kind:     by_value
      - .offset:         56
        .size:           8
        .value_kind:     by_value
      - .offset:         64
        .size:           8
        .value_kind:     by_value
      - .offset:         72
        .size:           8
        .value_kind:     by_value
      - .offset:         80
        .size:           4
        .value_kind:     by_value
      - .offset:         84
        .size:           4
        .value_kind:     by_value
      - .offset:         88
        .size:           4
        .value_kind:     by_value
      - .address_space:  global
        .offset:         96
        .size:           8
        .value_kind:     global_buffer
      - .address_space:  global
        .offset:         104
        .size:           8
        .value_kind:     global_buffer
      - .offset:         112
        .size:           4
        .value_kind:     hidden_block_count_x
      - .offset:         116
        .size:           4
        .value_kind:     hidden_block_count_y
      - .offset:         120
        .size:           4
        .value_kind:     hidden_block_count_z
      - .offset:         124
        .size:           2
        .value_kind:     hidden_group_size_x
      - .offset:         126
        .size:           2
        .value_kind:     hidden_group_size_y
      - .offset:         128
        .size:           2
        .value_kind:     hidden_group_size_z
      - .offset:         130
        .size:           2
        .value_kind:     hidden_remainder_x
      - .offset:         132
        .size:           2
        .value_kind:     hidden_remainder_y
      - .offset:         134
        .size:           2
        .value_kind:     hidden_remainder_z
      - .offset:         152
        .size:           8
        .value_kind:     hidden_global_offset_x
      - .offset:         160
        .size:           8
        .value_kind:     hidden_global_offset_y
      - .offset:         168
        .size:           8
        .value_kind:     hidden_global_offset_z
      - .offset:         176
        .size:           2
        .value_kind:     hidden_grid_dims
    .group_segment_fixed_size: 0
    .kernarg_segment_align: 8
    .kernarg_segment_size: 368
    .language:       OpenCL C
    .language_version:
      - 2
      - 0
    .max_flat_workgroup_size: 1024
    .name:           _ZN4vllm30reshape_and_cache_flash_kernelIfhLNS_18Fp8KVCacheDataTypeE1EEEvPKT_S4_PT0_S6_PKlllllliiiPKfSA_
    .private_segment_fixed_size: 0
    .sgpr_count:     78
    .sgpr_spill_count: 0
    .symbol:         _ZN4vllm30reshape_and_cache_flash_kernelIfhLNS_18Fp8KVCacheDataTypeE1EEEvPKT_S4_PT0_S6_PKlllllliiiPKfSA_.kd
    .uniform_work_group_size: 1
    .uses_dynamic_stack: false
    .vgpr_count:     54
    .vgpr_spill_count: 0
    .wavefront_size: 64
  - .args:
      - .address_space:  global
        .offset:         0
        .size:           8
        .value_kind:     global_buffer
      - .address_space:  global
        .offset:         8
        .size:           8
        .value_kind:     global_buffer
      - .actual_access:  write_only
        .address_space:  global
        .offset:         16
        .size:           8
        .value_kind:     global_buffer
      - .actual_access:  write_only
        .address_space:  global
        .offset:         24
        .size:           8
        .value_kind:     global_buffer
      - .actual_access:  read_only
        .address_space:  global
        .offset:         32
        .size:           8
        .value_kind:     global_buffer
      - .offset:         40
        .size:           8
        .value_kind:     by_value
      - .offset:         48
        .size:           8
        .value_kind:     by_value
      - .offset:         56
        .size:           8
        .value_kind:     by_value
      - .offset:         64
        .size:           8
        .value_kind:     by_value
      - .offset:         72
        .size:           8
        .value_kind:     by_value
      - .offset:         80
        .size:           4
        .value_kind:     by_value
      - .offset:         84
        .size:           4
        .value_kind:     by_value
      - .offset:         88
        .size:           4
        .value_kind:     by_value
      - .address_space:  global
        .offset:         96
        .size:           8
        .value_kind:     global_buffer
      - .address_space:  global
        .offset:         104
        .size:           8
        .value_kind:     global_buffer
      - .offset:         112
        .size:           4
        .value_kind:     hidden_block_count_x
      - .offset:         116
        .size:           4
        .value_kind:     hidden_block_count_y
      - .offset:         120
        .size:           4
        .value_kind:     hidden_block_count_z
      - .offset:         124
        .size:           2
        .value_kind:     hidden_group_size_x
      - .offset:         126
        .size:           2
        .value_kind:     hidden_group_size_y
      - .offset:         128
        .size:           2
        .value_kind:     hidden_group_size_z
      - .offset:         130
        .size:           2
        .value_kind:     hidden_remainder_x
      - .offset:         132
        .size:           2
        .value_kind:     hidden_remainder_y
      - .offset:         134
        .size:           2
        .value_kind:     hidden_remainder_z
      - .offset:         152
        .size:           8
        .value_kind:     hidden_global_offset_x
      - .offset:         160
        .size:           8
        .value_kind:     hidden_global_offset_y
      - .offset:         168
        .size:           8
        .value_kind:     hidden_global_offset_z
      - .offset:         176
        .size:           2
        .value_kind:     hidden_grid_dims
    .group_segment_fixed_size: 0
    .kernarg_segment_align: 8
    .kernarg_segment_size: 368
    .language:       OpenCL C
    .language_version:
      - 2
      - 0
    .max_flat_workgroup_size: 1024
    .name:           _ZN4vllm30reshape_and_cache_flash_kernelIthLNS_18Fp8KVCacheDataTypeE1EEEvPKT_S4_PT0_S6_PKlllllliiiPKfSA_
    .private_segment_fixed_size: 16
    .sgpr_count:     104
    .sgpr_spill_count: 3
    .symbol:         _ZN4vllm30reshape_and_cache_flash_kernelIthLNS_18Fp8KVCacheDataTypeE1EEEvPKT_S4_PT0_S6_PKlllllliiiPKfSA_.kd
    .uniform_work_group_size: 1
    .uses_dynamic_stack: false
    .vgpr_count:     64
    .vgpr_spill_count: 3
    .wavefront_size: 64
  - .args:
      - .address_space:  global
        .offset:         0
        .size:           8
        .value_kind:     global_buffer
      - .address_space:  global
        .offset:         8
        .size:           8
        .value_kind:     global_buffer
      - .actual_access:  write_only
        .address_space:  global
        .offset:         16
        .size:           8
        .value_kind:     global_buffer
      - .actual_access:  write_only
        .address_space:  global
        .offset:         24
        .size:           8
        .value_kind:     global_buffer
      - .actual_access:  read_only
        .address_space:  global
        .offset:         32
        .size:           8
        .value_kind:     global_buffer
      - .offset:         40
        .size:           8
        .value_kind:     by_value
      - .offset:         48
        .size:           8
        .value_kind:     by_value
      - .offset:         56
        .size:           8
        .value_kind:     by_value
      - .offset:         64
        .size:           8
        .value_kind:     by_value
      - .offset:         72
        .size:           8
        .value_kind:     by_value
      - .offset:         80
        .size:           4
        .value_kind:     by_value
      - .offset:         84
        .size:           4
        .value_kind:     by_value
      - .offset:         88
        .size:           4
        .value_kind:     by_value
      - .address_space:  global
        .offset:         96
        .size:           8
        .value_kind:     global_buffer
      - .address_space:  global
        .offset:         104
        .size:           8
        .value_kind:     global_buffer
      - .offset:         112
        .size:           4
        .value_kind:     hidden_block_count_x
      - .offset:         116
        .size:           4
        .value_kind:     hidden_block_count_y
      - .offset:         120
        .size:           4
        .value_kind:     hidden_block_count_z
      - .offset:         124
        .size:           2
        .value_kind:     hidden_group_size_x
      - .offset:         126
        .size:           2
        .value_kind:     hidden_group_size_y
      - .offset:         128
        .size:           2
        .value_kind:     hidden_group_size_z
      - .offset:         130
        .size:           2
        .value_kind:     hidden_remainder_x
      - .offset:         132
        .size:           2
        .value_kind:     hidden_remainder_y
      - .offset:         134
        .size:           2
        .value_kind:     hidden_remainder_z
      - .offset:         152
        .size:           8
        .value_kind:     hidden_global_offset_x
      - .offset:         160
        .size:           8
        .value_kind:     hidden_global_offset_y
      - .offset:         168
        .size:           8
        .value_kind:     hidden_global_offset_z
      - .offset:         176
        .size:           2
        .value_kind:     hidden_grid_dims
    .group_segment_fixed_size: 0
    .kernarg_segment_align: 8
    .kernarg_segment_size: 368
    .language:       OpenCL C
    .language_version:
      - 2
      - 0
    .max_flat_workgroup_size: 1024
    .name:           _ZN4vllm30reshape_and_cache_flash_kernelI14__hip_bfloat16hLNS_18Fp8KVCacheDataTypeE1EEEvPKT_S5_PT0_S7_PKlllllliiiPKfSB_
    .private_segment_fixed_size: 16
    .sgpr_count:     104
    .sgpr_spill_count: 3
    .symbol:         _ZN4vllm30reshape_and_cache_flash_kernelI14__hip_bfloat16hLNS_18Fp8KVCacheDataTypeE1EEEvPKT_S5_PT0_S7_PKlllllliiiPKfSB_.kd
    .uniform_work_group_size: 1
    .uses_dynamic_stack: false
    .vgpr_count:     64
    .vgpr_spill_count: 3
    .wavefront_size: 64
  - .args:
      - .actual_access:  read_only
        .address_space:  global
        .offset:         0
        .size:           8
        .value_kind:     global_buffer
      - .actual_access:  read_only
        .address_space:  global
        .offset:         8
        .size:           8
        .value_kind:     global_buffer
      - .actual_access:  write_only
        .address_space:  global
        .offset:         16
        .size:           8
        .value_kind:     global_buffer
      - .actual_access:  read_only
        .address_space:  global
        .offset:         24
        .size:           8
        .value_kind:     global_buffer
      - .offset:         32
        .size:           4
        .value_kind:     by_value
      - .offset:         36
        .size:           4
        .value_kind:     by_value
      - .offset:         40
        .size:           4
        .value_kind:     by_value
      - .offset:         44
        .size:           4
        .value_kind:     by_value
      - .offset:         48
        .size:           4
        .value_kind:     by_value
      - .offset:         52
        .size:           4
        .value_kind:     by_value
      - .offset:         56
        .size:           4
        .value_kind:     by_value
      - .address_space:  global
        .offset:         64
        .size:           8
        .value_kind:     global_buffer
      - .offset:         72
        .size:           4
        .value_kind:     hidden_block_count_x
      - .offset:         76
        .size:           4
        .value_kind:     hidden_block_count_y
      - .offset:         80
        .size:           4
        .value_kind:     hidden_block_count_z
      - .offset:         84
        .size:           2
        .value_kind:     hidden_group_size_x
      - .offset:         86
        .size:           2
        .value_kind:     hidden_group_size_y
      - .offset:         88
        .size:           2
        .value_kind:     hidden_group_size_z
      - .offset:         90
        .size:           2
        .value_kind:     hidden_remainder_x
      - .offset:         92
        .size:           2
        .value_kind:     hidden_remainder_y
      - .offset:         94
        .size:           2
        .value_kind:     hidden_remainder_z
      - .offset:         112
        .size:           8
        .value_kind:     hidden_global_offset_x
      - .offset:         120
        .size:           8
        .value_kind:     hidden_global_offset_y
      - .offset:         128
        .size:           8
        .value_kind:     hidden_global_offset_z
      - .offset:         136
        .size:           2
        .value_kind:     hidden_grid_dims
    .group_segment_fixed_size: 0
    .kernarg_segment_align: 8
    .kernarg_segment_size: 328
    .language:       OpenCL C
    .language_version:
      - 2
      - 0
    .max_flat_workgroup_size: 1024
    .name:           _ZN4vllm27concat_and_cache_mla_kernelIffLNS_18Fp8KVCacheDataTypeE0EEEvPKT_S4_PT0_PKliiiiiiiPKf
    .private_segment_fixed_size: 0
    .sgpr_count:     38
    .sgpr_spill_count: 0
    .symbol:         _ZN4vllm27concat_and_cache_mla_kernelIffLNS_18Fp8KVCacheDataTypeE0EEEvPKT_S4_PT0_PKliiiiiiiPKf.kd
    .uniform_work_group_size: 1
    .uses_dynamic_stack: false
    .vgpr_count:     9
    .vgpr_spill_count: 0
    .wavefront_size: 64
  - .args:
      - .actual_access:  read_only
        .address_space:  global
        .offset:         0
        .size:           8
        .value_kind:     global_buffer
      - .actual_access:  read_only
        .address_space:  global
        .offset:         8
        .size:           8
        .value_kind:     global_buffer
      - .actual_access:  write_only
        .address_space:  global
        .offset:         16
        .size:           8
        .value_kind:     global_buffer
      - .actual_access:  read_only
        .address_space:  global
        .offset:         24
        .size:           8
        .value_kind:     global_buffer
      - .offset:         32
        .size:           4
        .value_kind:     by_value
      - .offset:         36
        .size:           4
        .value_kind:     by_value
      - .offset:         40
        .size:           4
        .value_kind:     by_value
      - .offset:         44
        .size:           4
        .value_kind:     by_value
      - .offset:         48
        .size:           4
        .value_kind:     by_value
      - .offset:         52
        .size:           4
        .value_kind:     by_value
      - .offset:         56
        .size:           4
        .value_kind:     by_value
      - .address_space:  global
        .offset:         64
        .size:           8
        .value_kind:     global_buffer
      - .offset:         72
        .size:           4
        .value_kind:     hidden_block_count_x
      - .offset:         76
        .size:           4
        .value_kind:     hidden_block_count_y
      - .offset:         80
        .size:           4
        .value_kind:     hidden_block_count_z
      - .offset:         84
        .size:           2
        .value_kind:     hidden_group_size_x
      - .offset:         86
        .size:           2
        .value_kind:     hidden_group_size_y
      - .offset:         88
        .size:           2
        .value_kind:     hidden_group_size_z
      - .offset:         90
        .size:           2
        .value_kind:     hidden_remainder_x
      - .offset:         92
        .size:           2
        .value_kind:     hidden_remainder_y
      - .offset:         94
        .size:           2
        .value_kind:     hidden_remainder_z
      - .offset:         112
        .size:           8
        .value_kind:     hidden_global_offset_x
      - .offset:         120
        .size:           8
        .value_kind:     hidden_global_offset_y
      - .offset:         128
        .size:           8
        .value_kind:     hidden_global_offset_z
      - .offset:         136
        .size:           2
        .value_kind:     hidden_grid_dims
    .group_segment_fixed_size: 0
    .kernarg_segment_align: 8
    .kernarg_segment_size: 328
    .language:       OpenCL C
    .language_version:
      - 2
      - 0
    .max_flat_workgroup_size: 1024
    .name:           _ZN4vllm27concat_and_cache_mla_kernelIttLNS_18Fp8KVCacheDataTypeE0EEEvPKT_S4_PT0_PKliiiiiiiPKf
    .private_segment_fixed_size: 0
    .sgpr_count:     38
    .sgpr_spill_count: 0
    .symbol:         _ZN4vllm27concat_and_cache_mla_kernelIttLNS_18Fp8KVCacheDataTypeE0EEEvPKT_S4_PT0_PKliiiiiiiPKf.kd
    .uniform_work_group_size: 1
    .uses_dynamic_stack: false
    .vgpr_count:     9
    .vgpr_spill_count: 0
    .wavefront_size: 64
  - .args:
      - .actual_access:  read_only
        .address_space:  global
        .offset:         0
        .size:           8
        .value_kind:     global_buffer
      - .actual_access:  read_only
        .address_space:  global
        .offset:         8
        .size:           8
        .value_kind:     global_buffer
      - .actual_access:  write_only
        .address_space:  global
        .offset:         16
        .size:           8
        .value_kind:     global_buffer
      - .actual_access:  read_only
        .address_space:  global
        .offset:         24
        .size:           8
        .value_kind:     global_buffer
      - .offset:         32
        .size:           4
        .value_kind:     by_value
      - .offset:         36
        .size:           4
        .value_kind:     by_value
      - .offset:         40
        .size:           4
        .value_kind:     by_value
      - .offset:         44
        .size:           4
        .value_kind:     by_value
      - .offset:         48
        .size:           4
        .value_kind:     by_value
      - .offset:         52
        .size:           4
        .value_kind:     by_value
      - .offset:         56
        .size:           4
        .value_kind:     by_value
      - .address_space:  global
        .offset:         64
        .size:           8
        .value_kind:     global_buffer
      - .offset:         72
        .size:           4
        .value_kind:     hidden_block_count_x
      - .offset:         76
        .size:           4
        .value_kind:     hidden_block_count_y
      - .offset:         80
        .size:           4
        .value_kind:     hidden_block_count_z
      - .offset:         84
        .size:           2
        .value_kind:     hidden_group_size_x
      - .offset:         86
        .size:           2
        .value_kind:     hidden_group_size_y
      - .offset:         88
        .size:           2
        .value_kind:     hidden_group_size_z
      - .offset:         90
        .size:           2
        .value_kind:     hidden_remainder_x
      - .offset:         92
        .size:           2
        .value_kind:     hidden_remainder_y
      - .offset:         94
        .size:           2
        .value_kind:     hidden_remainder_z
      - .offset:         112
        .size:           8
        .value_kind:     hidden_global_offset_x
      - .offset:         120
        .size:           8
        .value_kind:     hidden_global_offset_y
      - .offset:         128
        .size:           8
        .value_kind:     hidden_global_offset_z
      - .offset:         136
        .size:           2
        .value_kind:     hidden_grid_dims
    .group_segment_fixed_size: 0
    .kernarg_segment_align: 8
    .kernarg_segment_size: 328
    .language:       OpenCL C
    .language_version:
      - 2
      - 0
    .max_flat_workgroup_size: 1024
    .name:           _ZN4vllm27concat_and_cache_mla_kernelI14__hip_bfloat16S1_LNS_18Fp8KVCacheDataTypeE0EEEvPKT_S5_PT0_PKliiiiiiiPKf
    .private_segment_fixed_size: 0
    .sgpr_count:     38
    .sgpr_spill_count: 0
    .symbol:         _ZN4vllm27concat_and_cache_mla_kernelI14__hip_bfloat16S1_LNS_18Fp8KVCacheDataTypeE0EEEvPKT_S5_PT0_PKliiiiiiiPKf.kd
    .uniform_work_group_size: 1
    .uses_dynamic_stack: false
    .vgpr_count:     9
    .vgpr_spill_count: 0
    .wavefront_size: 64
  - .args:
      - .actual_access:  read_only
        .address_space:  global
        .offset:         0
        .size:           8
        .value_kind:     global_buffer
      - .actual_access:  read_only
        .address_space:  global
        .offset:         8
        .size:           8
        .value_kind:     global_buffer
      - .actual_access:  write_only
        .address_space:  global
        .offset:         16
        .size:           8
        .value_kind:     global_buffer
      - .actual_access:  read_only
        .address_space:  global
        .offset:         24
        .size:           8
        .value_kind:     global_buffer
      - .offset:         32
        .size:           4
        .value_kind:     by_value
      - .offset:         36
        .size:           4
        .value_kind:     by_value
      - .offset:         40
        .size:           4
        .value_kind:     by_value
      - .offset:         44
        .size:           4
        .value_kind:     by_value
      - .offset:         48
        .size:           4
        .value_kind:     by_value
      - .offset:         52
        .size:           4
        .value_kind:     by_value
      - .offset:         56
        .size:           4
        .value_kind:     by_value
      - .address_space:  global
        .offset:         64
        .size:           8
        .value_kind:     global_buffer
      - .offset:         72
        .size:           4
        .value_kind:     hidden_block_count_x
      - .offset:         76
        .size:           4
        .value_kind:     hidden_block_count_y
      - .offset:         80
        .size:           4
        .value_kind:     hidden_block_count_z
      - .offset:         84
        .size:           2
        .value_kind:     hidden_group_size_x
      - .offset:         86
        .size:           2
        .value_kind:     hidden_group_size_y
      - .offset:         88
        .size:           2
        .value_kind:     hidden_group_size_z
      - .offset:         90
        .size:           2
        .value_kind:     hidden_remainder_x
      - .offset:         92
        .size:           2
        .value_kind:     hidden_remainder_y
      - .offset:         94
        .size:           2
        .value_kind:     hidden_remainder_z
      - .offset:         112
        .size:           8
        .value_kind:     hidden_global_offset_x
      - .offset:         120
        .size:           8
        .value_kind:     hidden_global_offset_y
      - .offset:         128
        .size:           8
        .value_kind:     hidden_global_offset_z
      - .offset:         136
        .size:           2
        .value_kind:     hidden_grid_dims
    .group_segment_fixed_size: 0
    .kernarg_segment_align: 8
    .kernarg_segment_size: 328
    .language:       OpenCL C
    .language_version:
      - 2
      - 0
    .max_flat_workgroup_size: 1024
    .name:           _ZN4vllm27concat_and_cache_mla_kernelIfhLNS_18Fp8KVCacheDataTypeE1EEEvPKT_S4_PT0_PKliiiiiiiPKf
    .private_segment_fixed_size: 0
    .sgpr_count:     55
    .sgpr_spill_count: 0
    .symbol:         _ZN4vllm27concat_and_cache_mla_kernelIfhLNS_18Fp8KVCacheDataTypeE1EEEvPKT_S4_PT0_PKliiiiiiiPKf.kd
    .uniform_work_group_size: 1
    .uses_dynamic_stack: false
    .vgpr_count:     18
    .vgpr_spill_count: 0
    .wavefront_size: 64
  - .args:
      - .actual_access:  read_only
        .address_space:  global
        .offset:         0
        .size:           8
        .value_kind:     global_buffer
      - .actual_access:  read_only
        .address_space:  global
        .offset:         8
        .size:           8
        .value_kind:     global_buffer
      - .actual_access:  write_only
        .address_space:  global
        .offset:         16
        .size:           8
        .value_kind:     global_buffer
      - .actual_access:  read_only
        .address_space:  global
        .offset:         24
        .size:           8
        .value_kind:     global_buffer
      - .offset:         32
        .size:           4
        .value_kind:     by_value
      - .offset:         36
        .size:           4
        .value_kind:     by_value
      - .offset:         40
        .size:           4
        .value_kind:     by_value
      - .offset:         44
        .size:           4
        .value_kind:     by_value
      - .offset:         48
        .size:           4
        .value_kind:     by_value
      - .offset:         52
        .size:           4
        .value_kind:     by_value
      - .offset:         56
        .size:           4
        .value_kind:     by_value
      - .address_space:  global
        .offset:         64
        .size:           8
        .value_kind:     global_buffer
      - .offset:         72
        .size:           4
        .value_kind:     hidden_block_count_x
      - .offset:         76
        .size:           4
        .value_kind:     hidden_block_count_y
      - .offset:         80
        .size:           4
        .value_kind:     hidden_block_count_z
      - .offset:         84
        .size:           2
        .value_kind:     hidden_group_size_x
      - .offset:         86
        .size:           2
        .value_kind:     hidden_group_size_y
      - .offset:         88
        .size:           2
        .value_kind:     hidden_group_size_z
      - .offset:         90
        .size:           2
        .value_kind:     hidden_remainder_x
      - .offset:         92
        .size:           2
        .value_kind:     hidden_remainder_y
      - .offset:         94
        .size:           2
        .value_kind:     hidden_remainder_z
      - .offset:         112
        .size:           8
        .value_kind:     hidden_global_offset_x
      - .offset:         120
        .size:           8
        .value_kind:     hidden_global_offset_y
      - .offset:         128
        .size:           8
        .value_kind:     hidden_global_offset_z
      - .offset:         136
        .size:           2
        .value_kind:     hidden_grid_dims
    .group_segment_fixed_size: 0
    .kernarg_segment_align: 8
    .kernarg_segment_size: 328
    .language:       OpenCL C
    .language_version:
      - 2
      - 0
    .max_flat_workgroup_size: 1024
    .name:           _ZN4vllm27concat_and_cache_mla_kernelIthLNS_18Fp8KVCacheDataTypeE1EEEvPKT_S4_PT0_PKliiiiiiiPKf
    .private_segment_fixed_size: 0
    .sgpr_count:     55
    .sgpr_spill_count: 0
    .symbol:         _ZN4vllm27concat_and_cache_mla_kernelIthLNS_18Fp8KVCacheDataTypeE1EEEvPKT_S4_PT0_PKliiiiiiiPKf.kd
    .uniform_work_group_size: 1
    .uses_dynamic_stack: false
    .vgpr_count:     18
    .vgpr_spill_count: 0
    .wavefront_size: 64
  - .args:
      - .actual_access:  read_only
        .address_space:  global
        .offset:         0
        .size:           8
        .value_kind:     global_buffer
      - .actual_access:  read_only
        .address_space:  global
        .offset:         8
        .size:           8
        .value_kind:     global_buffer
      - .actual_access:  write_only
        .address_space:  global
        .offset:         16
        .size:           8
        .value_kind:     global_buffer
      - .actual_access:  read_only
        .address_space:  global
        .offset:         24
        .size:           8
        .value_kind:     global_buffer
      - .offset:         32
        .size:           4
        .value_kind:     by_value
      - .offset:         36
        .size:           4
        .value_kind:     by_value
      - .offset:         40
        .size:           4
        .value_kind:     by_value
      - .offset:         44
        .size:           4
        .value_kind:     by_value
      - .offset:         48
        .size:           4
        .value_kind:     by_value
      - .offset:         52
        .size:           4
        .value_kind:     by_value
      - .offset:         56
        .size:           4
        .value_kind:     by_value
      - .address_space:  global
        .offset:         64
        .size:           8
        .value_kind:     global_buffer
      - .offset:         72
        .size:           4
        .value_kind:     hidden_block_count_x
      - .offset:         76
        .size:           4
        .value_kind:     hidden_block_count_y
      - .offset:         80
        .size:           4
        .value_kind:     hidden_block_count_z
      - .offset:         84
        .size:           2
        .value_kind:     hidden_group_size_x
      - .offset:         86
        .size:           2
        .value_kind:     hidden_group_size_y
      - .offset:         88
        .size:           2
        .value_kind:     hidden_group_size_z
      - .offset:         90
        .size:           2
        .value_kind:     hidden_remainder_x
      - .offset:         92
        .size:           2
        .value_kind:     hidden_remainder_y
      - .offset:         94
        .size:           2
        .value_kind:     hidden_remainder_z
      - .offset:         112
        .size:           8
        .value_kind:     hidden_global_offset_x
      - .offset:         120
        .size:           8
        .value_kind:     hidden_global_offset_y
      - .offset:         128
        .size:           8
        .value_kind:     hidden_global_offset_z
      - .offset:         136
        .size:           2
        .value_kind:     hidden_grid_dims
    .group_segment_fixed_size: 0
    .kernarg_segment_align: 8
    .kernarg_segment_size: 328
    .language:       OpenCL C
    .language_version:
      - 2
      - 0
    .max_flat_workgroup_size: 1024
    .name:           _ZN4vllm27concat_and_cache_mla_kernelI14__hip_bfloat16hLNS_18Fp8KVCacheDataTypeE1EEEvPKT_S5_PT0_PKliiiiiiiPKf
    .private_segment_fixed_size: 0
    .sgpr_count:     55
    .sgpr_spill_count: 0
    .symbol:         _ZN4vllm27concat_and_cache_mla_kernelI14__hip_bfloat16hLNS_18Fp8KVCacheDataTypeE1EEEvPKT_S5_PT0_PKliiiiiiiPKf.kd
    .uniform_work_group_size: 1
    .uses_dynamic_stack: false
    .vgpr_count:     18
    .vgpr_spill_count: 0
    .wavefront_size: 64
  - .args:
      - .actual_access:  read_only
        .address_space:  global
        .offset:         0
        .size:           8
        .value_kind:     global_buffer
      - .actual_access:  read_only
        .address_space:  global
        .offset:         8
        .size:           8
        .value_kind:     global_buffer
      - .offset:         16
        .size:           4
        .value_kind:     by_value
      - .offset:         24
        .size:           8
        .value_kind:     by_value
      - .offset:         32
        .size:           4
        .value_kind:     hidden_block_count_x
      - .offset:         36
        .size:           4
        .value_kind:     hidden_block_count_y
      - .offset:         40
        .size:           4
        .value_kind:     hidden_block_count_z
      - .offset:         44
        .size:           2
        .value_kind:     hidden_group_size_x
      - .offset:         46
        .size:           2
        .value_kind:     hidden_group_size_y
      - .offset:         48
        .size:           2
        .value_kind:     hidden_group_size_z
      - .offset:         50
        .size:           2
        .value_kind:     hidden_remainder_x
      - .offset:         52
        .size:           2
        .value_kind:     hidden_remainder_y
      - .offset:         54
        .size:           2
        .value_kind:     hidden_remainder_z
      - .offset:         72
        .size:           8
        .value_kind:     hidden_global_offset_x
      - .offset:         80
        .size:           8
        .value_kind:     hidden_global_offset_y
      - .offset:         88
        .size:           8
        .value_kind:     hidden_global_offset_z
      - .offset:         96
        .size:           2
        .value_kind:     hidden_grid_dims
      - .offset:         112
        .size:           8
        .value_kind:     hidden_hostcall_buffer
    .group_segment_fixed_size: 0
    .kernarg_segment_align: 8
    .kernarg_segment_size: 288
    .language:       OpenCL C
    .language_version:
      - 2
      - 0
    .max_flat_workgroup_size: 1024
    .name:           _ZN4vllm18convert_fp8_kernelIhfLNS_18Fp8KVCacheDataTypeE0EEEvPKT0_PT_fl
    .private_segment_fixed_size: 64
    .sgpr_count:     40
    .sgpr_spill_count: 0
    .symbol:         _ZN4vllm18convert_fp8_kernelIhfLNS_18Fp8KVCacheDataTypeE0EEEvPKT0_PT_fl.kd
    .uniform_work_group_size: 1
    .uses_dynamic_stack: false
    .vgpr_count:     41
    .vgpr_spill_count: 0
    .wavefront_size: 64
  - .args:
      - .actual_access:  read_only
        .address_space:  global
        .offset:         0
        .size:           8
        .value_kind:     global_buffer
      - .actual_access:  read_only
        .address_space:  global
        .offset:         8
        .size:           8
        .value_kind:     global_buffer
      - .offset:         16
        .size:           4
        .value_kind:     by_value
      - .offset:         24
        .size:           8
        .value_kind:     by_value
      - .offset:         32
        .size:           4
        .value_kind:     hidden_block_count_x
      - .offset:         36
        .size:           4
        .value_kind:     hidden_block_count_y
      - .offset:         40
        .size:           4
        .value_kind:     hidden_block_count_z
      - .offset:         44
        .size:           2
        .value_kind:     hidden_group_size_x
      - .offset:         46
        .size:           2
        .value_kind:     hidden_group_size_y
      - .offset:         48
        .size:           2
        .value_kind:     hidden_group_size_z
      - .offset:         50
        .size:           2
        .value_kind:     hidden_remainder_x
      - .offset:         52
        .size:           2
        .value_kind:     hidden_remainder_y
      - .offset:         54
        .size:           2
        .value_kind:     hidden_remainder_z
      - .offset:         72
        .size:           8
        .value_kind:     hidden_global_offset_x
      - .offset:         80
        .size:           8
        .value_kind:     hidden_global_offset_y
      - .offset:         88
        .size:           8
        .value_kind:     hidden_global_offset_z
      - .offset:         96
        .size:           2
        .value_kind:     hidden_grid_dims
      - .offset:         112
        .size:           8
        .value_kind:     hidden_hostcall_buffer
    .group_segment_fixed_size: 0
    .kernarg_segment_align: 8
    .kernarg_segment_size: 288
    .language:       OpenCL C
    .language_version:
      - 2
      - 0
    .max_flat_workgroup_size: 1024
    .name:           _ZN4vllm18convert_fp8_kernelIhtLNS_18Fp8KVCacheDataTypeE0EEEvPKT0_PT_fl
    .private_segment_fixed_size: 64
    .sgpr_count:     40
    .sgpr_spill_count: 0
    .symbol:         _ZN4vllm18convert_fp8_kernelIhtLNS_18Fp8KVCacheDataTypeE0EEEvPKT0_PT_fl.kd
    .uniform_work_group_size: 1
    .uses_dynamic_stack: false
    .vgpr_count:     41
    .vgpr_spill_count: 0
    .wavefront_size: 64
  - .args:
      - .actual_access:  read_only
        .address_space:  global
        .offset:         0
        .size:           8
        .value_kind:     global_buffer
      - .actual_access:  read_only
        .address_space:  global
        .offset:         8
        .size:           8
        .value_kind:     global_buffer
      - .offset:         16
        .size:           4
        .value_kind:     by_value
      - .offset:         24
        .size:           8
        .value_kind:     by_value
      - .offset:         32
        .size:           4
        .value_kind:     hidden_block_count_x
      - .offset:         36
        .size:           4
        .value_kind:     hidden_block_count_y
      - .offset:         40
        .size:           4
        .value_kind:     hidden_block_count_z
      - .offset:         44
        .size:           2
        .value_kind:     hidden_group_size_x
      - .offset:         46
        .size:           2
        .value_kind:     hidden_group_size_y
      - .offset:         48
        .size:           2
        .value_kind:     hidden_group_size_z
      - .offset:         50
        .size:           2
        .value_kind:     hidden_remainder_x
      - .offset:         52
        .size:           2
        .value_kind:     hidden_remainder_y
      - .offset:         54
        .size:           2
        .value_kind:     hidden_remainder_z
      - .offset:         72
        .size:           8
        .value_kind:     hidden_global_offset_x
      - .offset:         80
        .size:           8
        .value_kind:     hidden_global_offset_y
      - .offset:         88
        .size:           8
        .value_kind:     hidden_global_offset_z
      - .offset:         96
        .size:           2
        .value_kind:     hidden_grid_dims
      - .offset:         112
        .size:           8
        .value_kind:     hidden_hostcall_buffer
    .group_segment_fixed_size: 0
    .kernarg_segment_align: 8
    .kernarg_segment_size: 288
    .language:       OpenCL C
    .language_version:
      - 2
      - 0
    .max_flat_workgroup_size: 1024
    .name:           _ZN4vllm18convert_fp8_kernelIh14__hip_bfloat16LNS_18Fp8KVCacheDataTypeE0EEEvPKT0_PT_fl
    .private_segment_fixed_size: 64
    .sgpr_count:     40
    .sgpr_spill_count: 0
    .symbol:         _ZN4vllm18convert_fp8_kernelIh14__hip_bfloat16LNS_18Fp8KVCacheDataTypeE0EEEvPKT0_PT_fl.kd
    .uniform_work_group_size: 1
    .uses_dynamic_stack: false
    .vgpr_count:     41
    .vgpr_spill_count: 0
    .wavefront_size: 64
  - .args:
      - .actual_access:  read_only
        .address_space:  global
        .offset:         0
        .size:           8
        .value_kind:     global_buffer
      - .actual_access:  read_only
        .address_space:  global
        .offset:         8
        .size:           8
        .value_kind:     global_buffer
      - .offset:         16
        .size:           4
        .value_kind:     by_value
      - .offset:         24
        .size:           8
        .value_kind:     by_value
      - .offset:         32
        .size:           4
        .value_kind:     hidden_block_count_x
      - .offset:         36
        .size:           4
        .value_kind:     hidden_block_count_y
      - .offset:         40
        .size:           4
        .value_kind:     hidden_block_count_z
      - .offset:         44
        .size:           2
        .value_kind:     hidden_group_size_x
      - .offset:         46
        .size:           2
        .value_kind:     hidden_group_size_y
      - .offset:         48
        .size:           2
        .value_kind:     hidden_group_size_z
      - .offset:         50
        .size:           2
        .value_kind:     hidden_remainder_x
      - .offset:         52
        .size:           2
        .value_kind:     hidden_remainder_y
      - .offset:         54
        .size:           2
        .value_kind:     hidden_remainder_z
      - .offset:         72
        .size:           8
        .value_kind:     hidden_global_offset_x
      - .offset:         80
        .size:           8
        .value_kind:     hidden_global_offset_y
      - .offset:         88
        .size:           8
        .value_kind:     hidden_global_offset_z
      - .offset:         96
        .size:           2
        .value_kind:     hidden_grid_dims
      - .offset:         112
        .size:           8
        .value_kind:     hidden_hostcall_buffer
    .group_segment_fixed_size: 0
    .kernarg_segment_align: 8
    .kernarg_segment_size: 288
    .language:       OpenCL C
    .language_version:
      - 2
      - 0
    .max_flat_workgroup_size: 1024
    .name:           _ZN4vllm18convert_fp8_kernelIfhLNS_18Fp8KVCacheDataTypeE0EEEvPKT0_PT_fl
    .private_segment_fixed_size: 64
    .sgpr_count:     40
    .sgpr_spill_count: 0
    .symbol:         _ZN4vllm18convert_fp8_kernelIfhLNS_18Fp8KVCacheDataTypeE0EEEvPKT0_PT_fl.kd
    .uniform_work_group_size: 1
    .uses_dynamic_stack: false
    .vgpr_count:     41
    .vgpr_spill_count: 0
    .wavefront_size: 64
  - .args:
      - .actual_access:  read_only
        .address_space:  global
        .offset:         0
        .size:           8
        .value_kind:     global_buffer
      - .actual_access:  read_only
        .address_space:  global
        .offset:         8
        .size:           8
        .value_kind:     global_buffer
      - .offset:         16
        .size:           4
        .value_kind:     by_value
      - .offset:         24
        .size:           8
        .value_kind:     by_value
      - .offset:         32
        .size:           4
        .value_kind:     hidden_block_count_x
      - .offset:         36
        .size:           4
        .value_kind:     hidden_block_count_y
      - .offset:         40
        .size:           4
        .value_kind:     hidden_block_count_z
      - .offset:         44
        .size:           2
        .value_kind:     hidden_group_size_x
      - .offset:         46
        .size:           2
        .value_kind:     hidden_group_size_y
      - .offset:         48
        .size:           2
        .value_kind:     hidden_group_size_z
      - .offset:         50
        .size:           2
        .value_kind:     hidden_remainder_x
      - .offset:         52
        .size:           2
        .value_kind:     hidden_remainder_y
      - .offset:         54
        .size:           2
        .value_kind:     hidden_remainder_z
      - .offset:         72
        .size:           8
        .value_kind:     hidden_global_offset_x
      - .offset:         80
        .size:           8
        .value_kind:     hidden_global_offset_y
      - .offset:         88
        .size:           8
        .value_kind:     hidden_global_offset_z
      - .offset:         96
        .size:           2
        .value_kind:     hidden_grid_dims
      - .offset:         112
        .size:           8
        .value_kind:     hidden_hostcall_buffer
    .group_segment_fixed_size: 0
    .kernarg_segment_align: 8
    .kernarg_segment_size: 288
    .language:       OpenCL C
    .language_version:
      - 2
      - 0
    .max_flat_workgroup_size: 1024
    .name:           _ZN4vllm18convert_fp8_kernelIthLNS_18Fp8KVCacheDataTypeE0EEEvPKT0_PT_fl
    .private_segment_fixed_size: 64
    .sgpr_count:     40
    .sgpr_spill_count: 0
    .symbol:         _ZN4vllm18convert_fp8_kernelIthLNS_18Fp8KVCacheDataTypeE0EEEvPKT0_PT_fl.kd
    .uniform_work_group_size: 1
    .uses_dynamic_stack: false
    .vgpr_count:     41
    .vgpr_spill_count: 0
    .wavefront_size: 64
  - .args:
      - .actual_access:  read_only
        .address_space:  global
        .offset:         0
        .size:           8
        .value_kind:     global_buffer
      - .actual_access:  read_only
        .address_space:  global
        .offset:         8
        .size:           8
        .value_kind:     global_buffer
      - .offset:         16
        .size:           4
        .value_kind:     by_value
      - .offset:         24
        .size:           8
        .value_kind:     by_value
      - .offset:         32
        .size:           4
        .value_kind:     hidden_block_count_x
      - .offset:         36
        .size:           4
        .value_kind:     hidden_block_count_y
      - .offset:         40
        .size:           4
        .value_kind:     hidden_block_count_z
      - .offset:         44
        .size:           2
        .value_kind:     hidden_group_size_x
      - .offset:         46
        .size:           2
        .value_kind:     hidden_group_size_y
      - .offset:         48
        .size:           2
        .value_kind:     hidden_group_size_z
      - .offset:         50
        .size:           2
        .value_kind:     hidden_remainder_x
      - .offset:         52
        .size:           2
        .value_kind:     hidden_remainder_y
      - .offset:         54
        .size:           2
        .value_kind:     hidden_remainder_z
      - .offset:         72
        .size:           8
        .value_kind:     hidden_global_offset_x
      - .offset:         80
        .size:           8
        .value_kind:     hidden_global_offset_y
      - .offset:         88
        .size:           8
        .value_kind:     hidden_global_offset_z
      - .offset:         96
        .size:           2
        .value_kind:     hidden_grid_dims
      - .offset:         112
        .size:           8
        .value_kind:     hidden_hostcall_buffer
    .group_segment_fixed_size: 0
    .kernarg_segment_align: 8
    .kernarg_segment_size: 288
    .language:       OpenCL C
    .language_version:
      - 2
      - 0
    .max_flat_workgroup_size: 1024
    .name:           _ZN4vllm18convert_fp8_kernelI14__hip_bfloat16hLNS_18Fp8KVCacheDataTypeE0EEEvPKT0_PT_fl
    .private_segment_fixed_size: 64
    .sgpr_count:     40
    .sgpr_spill_count: 0
    .symbol:         _ZN4vllm18convert_fp8_kernelI14__hip_bfloat16hLNS_18Fp8KVCacheDataTypeE0EEEvPKT0_PT_fl.kd
    .uniform_work_group_size: 1
    .uses_dynamic_stack: false
    .vgpr_count:     41
    .vgpr_spill_count: 0
    .wavefront_size: 64
  - .args:
      - .actual_access:  read_only
        .address_space:  global
        .offset:         0
        .size:           8
        .value_kind:     global_buffer
      - .actual_access:  write_only
        .address_space:  global
        .offset:         8
        .size:           8
        .value_kind:     global_buffer
      - .offset:         16
        .size:           4
        .value_kind:     by_value
      - .offset:         24
        .size:           8
        .value_kind:     by_value
      - .offset:         32
        .size:           4
        .value_kind:     hidden_block_count_x
      - .offset:         36
        .size:           4
        .value_kind:     hidden_block_count_y
      - .offset:         40
        .size:           4
        .value_kind:     hidden_block_count_z
      - .offset:         44
        .size:           2
        .value_kind:     hidden_group_size_x
      - .offset:         46
        .size:           2
        .value_kind:     hidden_group_size_y
      - .offset:         48
        .size:           2
        .value_kind:     hidden_group_size_z
      - .offset:         50
        .size:           2
        .value_kind:     hidden_remainder_x
      - .offset:         52
        .size:           2
        .value_kind:     hidden_remainder_y
      - .offset:         54
        .size:           2
        .value_kind:     hidden_remainder_z
      - .offset:         72
        .size:           8
        .value_kind:     hidden_global_offset_x
      - .offset:         80
        .size:           8
        .value_kind:     hidden_global_offset_y
      - .offset:         88
        .size:           8
        .value_kind:     hidden_global_offset_z
      - .offset:         96
        .size:           2
        .value_kind:     hidden_grid_dims
    .group_segment_fixed_size: 0
    .kernarg_segment_align: 8
    .kernarg_segment_size: 288
    .language:       OpenCL C
    .language_version:
      - 2
      - 0
    .max_flat_workgroup_size: 1024
    .name:           _ZN4vllm18convert_fp8_kernelIhfLNS_18Fp8KVCacheDataTypeE1EEEvPKT0_PT_fl
    .private_segment_fixed_size: 0
    .sgpr_count:     33
    .sgpr_spill_count: 0
    .symbol:         _ZN4vllm18convert_fp8_kernelIhfLNS_18Fp8KVCacheDataTypeE1EEEvPKT0_PT_fl.kd
    .uniform_work_group_size: 1
    .uses_dynamic_stack: false
    .vgpr_count:     19
    .vgpr_spill_count: 0
    .wavefront_size: 64
  - .args:
      - .actual_access:  read_only
        .address_space:  global
        .offset:         0
        .size:           8
        .value_kind:     global_buffer
      - .actual_access:  write_only
        .address_space:  global
        .offset:         8
        .size:           8
        .value_kind:     global_buffer
      - .offset:         16
        .size:           4
        .value_kind:     by_value
      - .offset:         24
        .size:           8
        .value_kind:     by_value
      - .offset:         32
        .size:           4
        .value_kind:     hidden_block_count_x
      - .offset:         36
        .size:           4
        .value_kind:     hidden_block_count_y
      - .offset:         40
        .size:           4
        .value_kind:     hidden_block_count_z
      - .offset:         44
        .size:           2
        .value_kind:     hidden_group_size_x
      - .offset:         46
        .size:           2
        .value_kind:     hidden_group_size_y
      - .offset:         48
        .size:           2
        .value_kind:     hidden_group_size_z
      - .offset:         50
        .size:           2
        .value_kind:     hidden_remainder_x
      - .offset:         52
        .size:           2
        .value_kind:     hidden_remainder_y
      - .offset:         54
        .size:           2
        .value_kind:     hidden_remainder_z
      - .offset:         72
        .size:           8
        .value_kind:     hidden_global_offset_x
      - .offset:         80
        .size:           8
        .value_kind:     hidden_global_offset_y
      - .offset:         88
        .size:           8
        .value_kind:     hidden_global_offset_z
      - .offset:         96
        .size:           2
        .value_kind:     hidden_grid_dims
    .group_segment_fixed_size: 0
    .kernarg_segment_align: 8
    .kernarg_segment_size: 288
    .language:       OpenCL C
    .language_version:
      - 2
      - 0
    .max_flat_workgroup_size: 1024
    .name:           _ZN4vllm18convert_fp8_kernelIhtLNS_18Fp8KVCacheDataTypeE1EEEvPKT0_PT_fl
    .private_segment_fixed_size: 0
    .sgpr_count:     33
    .sgpr_spill_count: 0
    .symbol:         _ZN4vllm18convert_fp8_kernelIhtLNS_18Fp8KVCacheDataTypeE1EEEvPKT0_PT_fl.kd
    .uniform_work_group_size: 1
    .uses_dynamic_stack: false
    .vgpr_count:     19
    .vgpr_spill_count: 0
    .wavefront_size: 64
  - .args:
      - .actual_access:  read_only
        .address_space:  global
        .offset:         0
        .size:           8
        .value_kind:     global_buffer
      - .actual_access:  write_only
        .address_space:  global
        .offset:         8
        .size:           8
        .value_kind:     global_buffer
      - .offset:         16
        .size:           4
        .value_kind:     by_value
      - .offset:         24
        .size:           8
        .value_kind:     by_value
      - .offset:         32
        .size:           4
        .value_kind:     hidden_block_count_x
      - .offset:         36
        .size:           4
        .value_kind:     hidden_block_count_y
      - .offset:         40
        .size:           4
        .value_kind:     hidden_block_count_z
      - .offset:         44
        .size:           2
        .value_kind:     hidden_group_size_x
      - .offset:         46
        .size:           2
        .value_kind:     hidden_group_size_y
      - .offset:         48
        .size:           2
        .value_kind:     hidden_group_size_z
      - .offset:         50
        .size:           2
        .value_kind:     hidden_remainder_x
      - .offset:         52
        .size:           2
        .value_kind:     hidden_remainder_y
      - .offset:         54
        .size:           2
        .value_kind:     hidden_remainder_z
      - .offset:         72
        .size:           8
        .value_kind:     hidden_global_offset_x
      - .offset:         80
        .size:           8
        .value_kind:     hidden_global_offset_y
      - .offset:         88
        .size:           8
        .value_kind:     hidden_global_offset_z
      - .offset:         96
        .size:           2
        .value_kind:     hidden_grid_dims
    .group_segment_fixed_size: 0
    .kernarg_segment_align: 8
    .kernarg_segment_size: 288
    .language:       OpenCL C
    .language_version:
      - 2
      - 0
    .max_flat_workgroup_size: 1024
    .name:           _ZN4vllm18convert_fp8_kernelIh14__hip_bfloat16LNS_18Fp8KVCacheDataTypeE1EEEvPKT0_PT_fl
    .private_segment_fixed_size: 0
    .sgpr_count:     33
    .sgpr_spill_count: 0
    .symbol:         _ZN4vllm18convert_fp8_kernelIh14__hip_bfloat16LNS_18Fp8KVCacheDataTypeE1EEEvPKT0_PT_fl.kd
    .uniform_work_group_size: 1
    .uses_dynamic_stack: false
    .vgpr_count:     19
    .vgpr_spill_count: 0
    .wavefront_size: 64
  - .args:
      - .actual_access:  read_only
        .address_space:  global
        .offset:         0
        .size:           8
        .value_kind:     global_buffer
      - .actual_access:  write_only
        .address_space:  global
        .offset:         8
        .size:           8
        .value_kind:     global_buffer
      - .offset:         16
        .size:           4
        .value_kind:     by_value
      - .offset:         24
        .size:           8
        .value_kind:     by_value
      - .offset:         32
        .size:           4
        .value_kind:     hidden_block_count_x
      - .offset:         36
        .size:           4
        .value_kind:     hidden_block_count_y
      - .offset:         40
        .size:           4
        .value_kind:     hidden_block_count_z
      - .offset:         44
        .size:           2
        .value_kind:     hidden_group_size_x
      - .offset:         46
        .size:           2
        .value_kind:     hidden_group_size_y
      - .offset:         48
        .size:           2
        .value_kind:     hidden_group_size_z
      - .offset:         50
        .size:           2
        .value_kind:     hidden_remainder_x
      - .offset:         52
        .size:           2
        .value_kind:     hidden_remainder_y
      - .offset:         54
        .size:           2
        .value_kind:     hidden_remainder_z
      - .offset:         72
        .size:           8
        .value_kind:     hidden_global_offset_x
      - .offset:         80
        .size:           8
        .value_kind:     hidden_global_offset_y
      - .offset:         88
        .size:           8
        .value_kind:     hidden_global_offset_z
      - .offset:         96
        .size:           2
        .value_kind:     hidden_grid_dims
    .group_segment_fixed_size: 0
    .kernarg_segment_align: 8
    .kernarg_segment_size: 288
    .language:       OpenCL C
    .language_version:
      - 2
      - 0
    .max_flat_workgroup_size: 1024
    .name:           _ZN4vllm18convert_fp8_kernelIfhLNS_18Fp8KVCacheDataTypeE1EEEvPKT0_PT_fl
    .private_segment_fixed_size: 0
    .sgpr_count:     22
    .sgpr_spill_count: 0
    .symbol:         _ZN4vllm18convert_fp8_kernelIfhLNS_18Fp8KVCacheDataTypeE1EEEvPKT0_PT_fl.kd
    .uniform_work_group_size: 1
    .uses_dynamic_stack: false
    .vgpr_count:     15
    .vgpr_spill_count: 0
    .wavefront_size: 64
  - .args:
      - .actual_access:  read_only
        .address_space:  global
        .offset:         0
        .size:           8
        .value_kind:     global_buffer
      - .actual_access:  write_only
        .address_space:  global
        .offset:         8
        .size:           8
        .value_kind:     global_buffer
      - .offset:         16
        .size:           4
        .value_kind:     by_value
      - .offset:         24
        .size:           8
        .value_kind:     by_value
      - .offset:         32
        .size:           4
        .value_kind:     hidden_block_count_x
      - .offset:         36
        .size:           4
        .value_kind:     hidden_block_count_y
      - .offset:         40
        .size:           4
        .value_kind:     hidden_block_count_z
      - .offset:         44
        .size:           2
        .value_kind:     hidden_group_size_x
      - .offset:         46
        .size:           2
        .value_kind:     hidden_group_size_y
      - .offset:         48
        .size:           2
        .value_kind:     hidden_group_size_z
      - .offset:         50
        .size:           2
        .value_kind:     hidden_remainder_x
      - .offset:         52
        .size:           2
        .value_kind:     hidden_remainder_y
      - .offset:         54
        .size:           2
        .value_kind:     hidden_remainder_z
      - .offset:         72
        .size:           8
        .value_kind:     hidden_global_offset_x
      - .offset:         80
        .size:           8
        .value_kind:     hidden_global_offset_y
      - .offset:         88
        .size:           8
        .value_kind:     hidden_global_offset_z
      - .offset:         96
        .size:           2
        .value_kind:     hidden_grid_dims
    .group_segment_fixed_size: 0
    .kernarg_segment_align: 8
    .kernarg_segment_size: 288
    .language:       OpenCL C
    .language_version:
      - 2
      - 0
    .max_flat_workgroup_size: 1024
    .name:           _ZN4vllm18convert_fp8_kernelIthLNS_18Fp8KVCacheDataTypeE1EEEvPKT0_PT_fl
    .private_segment_fixed_size: 0
    .sgpr_count:     22
    .sgpr_spill_count: 0
    .symbol:         _ZN4vllm18convert_fp8_kernelIthLNS_18Fp8KVCacheDataTypeE1EEEvPKT0_PT_fl.kd
    .uniform_work_group_size: 1
    .uses_dynamic_stack: false
    .vgpr_count:     15
    .vgpr_spill_count: 0
    .wavefront_size: 64
  - .args:
      - .actual_access:  read_only
        .address_space:  global
        .offset:         0
        .size:           8
        .value_kind:     global_buffer
      - .actual_access:  write_only
        .address_space:  global
        .offset:         8
        .size:           8
        .value_kind:     global_buffer
      - .offset:         16
        .size:           4
        .value_kind:     by_value
      - .offset:         24
        .size:           8
        .value_kind:     by_value
      - .offset:         32
        .size:           4
        .value_kind:     hidden_block_count_x
      - .offset:         36
        .size:           4
        .value_kind:     hidden_block_count_y
      - .offset:         40
        .size:           4
        .value_kind:     hidden_block_count_z
      - .offset:         44
        .size:           2
        .value_kind:     hidden_group_size_x
      - .offset:         46
        .size:           2
        .value_kind:     hidden_group_size_y
      - .offset:         48
        .size:           2
        .value_kind:     hidden_group_size_z
      - .offset:         50
        .size:           2
        .value_kind:     hidden_remainder_x
      - .offset:         52
        .size:           2
        .value_kind:     hidden_remainder_y
      - .offset:         54
        .size:           2
        .value_kind:     hidden_remainder_z
      - .offset:         72
        .size:           8
        .value_kind:     hidden_global_offset_x
      - .offset:         80
        .size:           8
        .value_kind:     hidden_global_offset_y
      - .offset:         88
        .size:           8
        .value_kind:     hidden_global_offset_z
      - .offset:         96
        .size:           2
        .value_kind:     hidden_grid_dims
    .group_segment_fixed_size: 0
    .kernarg_segment_align: 8
    .kernarg_segment_size: 288
    .language:       OpenCL C
    .language_version:
      - 2
      - 0
    .max_flat_workgroup_size: 1024
    .name:           _ZN4vllm18convert_fp8_kernelI14__hip_bfloat16hLNS_18Fp8KVCacheDataTypeE1EEEvPKT0_PT_fl
    .private_segment_fixed_size: 0
    .sgpr_count:     23
    .sgpr_spill_count: 0
    .symbol:         _ZN4vllm18convert_fp8_kernelI14__hip_bfloat16hLNS_18Fp8KVCacheDataTypeE1EEEvPKT0_PT_fl.kd
    .uniform_work_group_size: 1
    .uses_dynamic_stack: false
    .vgpr_count:     15
    .vgpr_spill_count: 0
    .wavefront_size: 64
  - .args:
      - .actual_access:  read_only
        .address_space:  global
        .offset:         0
        .size:           8
        .value_kind:     global_buffer
      - .actual_access:  write_only
        .address_space:  global
        .offset:         8
        .size:           8
        .value_kind:     global_buffer
      - .actual_access:  read_only
        .address_space:  global
        .offset:         16
        .size:           8
        .value_kind:     global_buffer
      - .actual_access:  read_only
        .address_space:  global
        .offset:         24
        .size:           8
        .value_kind:     global_buffer
      - .offset:         32
        .size:           4
        .value_kind:     by_value
      - .offset:         36
        .size:           4
        .value_kind:     by_value
      - .offset:         40
        .size:           8
        .value_kind:     by_value
      - .offset:         48
        .size:           8
        .value_kind:     by_value
      - .offset:         56
        .size:           8
        .value_kind:     by_value
      - .offset:         64
        .size:           8
        .value_kind:     by_value
      - .actual_access:  read_only
        .address_space:  global
        .offset:         72
        .size:           8
        .value_kind:     global_buffer
      - .actual_access:  read_only
        .address_space:  global
        .offset:         80
        .size:           8
        .value_kind:     global_buffer
      - .offset:         88
        .size:           4
        .value_kind:     hidden_block_count_x
      - .offset:         92
        .size:           4
        .value_kind:     hidden_block_count_y
      - .offset:         96
        .size:           4
        .value_kind:     hidden_block_count_z
      - .offset:         100
        .size:           2
        .value_kind:     hidden_group_size_x
      - .offset:         102
        .size:           2
        .value_kind:     hidden_group_size_y
      - .offset:         104
        .size:           2
        .value_kind:     hidden_group_size_z
      - .offset:         106
        .size:           2
        .value_kind:     hidden_remainder_x
      - .offset:         108
        .size:           2
        .value_kind:     hidden_remainder_y
      - .offset:         110
        .size:           2
        .value_kind:     hidden_remainder_z
      - .offset:         128
        .size:           8
        .value_kind:     hidden_global_offset_x
      - .offset:         136
        .size:           8
        .value_kind:     hidden_global_offset_y
      - .offset:         144
        .size:           8
        .value_kind:     hidden_global_offset_z
      - .offset:         152
        .size:           2
        .value_kind:     hidden_grid_dims
    .group_segment_fixed_size: 0
    .kernarg_segment_align: 8
    .kernarg_segment_size: 344
    .language:       OpenCL C
    .language_version:
      - 2
      - 0
    .max_flat_workgroup_size: 1024
    .name:           _ZN4vllm30gather_and_maybe_dequant_cacheIffLNS_18Fp8KVCacheDataTypeE0EEEvPKT0_PT_PKiS8_iillllPKfS8_
    .private_segment_fixed_size: 0
    .sgpr_count:     42
    .sgpr_spill_count: 0
    .symbol:         _ZN4vllm30gather_and_maybe_dequant_cacheIffLNS_18Fp8KVCacheDataTypeE0EEEvPKT0_PT_PKiS8_iillllPKfS8_.kd
    .uniform_work_group_size: 1
    .uses_dynamic_stack: false
    .vgpr_count:     9
    .vgpr_spill_count: 0
    .wavefront_size: 64
  - .args:
      - .actual_access:  read_only
        .address_space:  global
        .offset:         0
        .size:           8
        .value_kind:     global_buffer
      - .actual_access:  write_only
        .address_space:  global
        .offset:         8
        .size:           8
        .value_kind:     global_buffer
      - .actual_access:  read_only
        .address_space:  global
        .offset:         16
        .size:           8
        .value_kind:     global_buffer
      - .actual_access:  read_only
        .address_space:  global
        .offset:         24
        .size:           8
        .value_kind:     global_buffer
      - .offset:         32
        .size:           4
        .value_kind:     by_value
      - .offset:         36
        .size:           4
        .value_kind:     by_value
      - .offset:         40
        .size:           8
        .value_kind:     by_value
      - .offset:         48
        .size:           8
        .value_kind:     by_value
      - .offset:         56
        .size:           8
        .value_kind:     by_value
      - .offset:         64
        .size:           8
        .value_kind:     by_value
      - .actual_access:  read_only
        .address_space:  global
        .offset:         72
        .size:           8
        .value_kind:     global_buffer
      - .actual_access:  read_only
        .address_space:  global
        .offset:         80
        .size:           8
        .value_kind:     global_buffer
      - .offset:         88
        .size:           4
        .value_kind:     hidden_block_count_x
      - .offset:         92
        .size:           4
        .value_kind:     hidden_block_count_y
      - .offset:         96
        .size:           4
        .value_kind:     hidden_block_count_z
      - .offset:         100
        .size:           2
        .value_kind:     hidden_group_size_x
      - .offset:         102
        .size:           2
        .value_kind:     hidden_group_size_y
      - .offset:         104
        .size:           2
        .value_kind:     hidden_group_size_z
      - .offset:         106
        .size:           2
        .value_kind:     hidden_remainder_x
      - .offset:         108
        .size:           2
        .value_kind:     hidden_remainder_y
      - .offset:         110
        .size:           2
        .value_kind:     hidden_remainder_z
      - .offset:         128
        .size:           8
        .value_kind:     hidden_global_offset_x
      - .offset:         136
        .size:           8
        .value_kind:     hidden_global_offset_y
      - .offset:         144
        .size:           8
        .value_kind:     hidden_global_offset_z
      - .offset:         152
        .size:           2
        .value_kind:     hidden_grid_dims
    .group_segment_fixed_size: 0
    .kernarg_segment_align: 8
    .kernarg_segment_size: 344
    .language:       OpenCL C
    .language_version:
      - 2
      - 0
    .max_flat_workgroup_size: 1024
    .name:           _ZN4vllm30gather_and_maybe_dequant_cacheIttLNS_18Fp8KVCacheDataTypeE0EEEvPKT0_PT_PKiS8_iillllPKfS8_
    .private_segment_fixed_size: 0
    .sgpr_count:     42
    .sgpr_spill_count: 0
    .symbol:         _ZN4vllm30gather_and_maybe_dequant_cacheIttLNS_18Fp8KVCacheDataTypeE0EEEvPKT0_PT_PKiS8_iillllPKfS8_.kd
    .uniform_work_group_size: 1
    .uses_dynamic_stack: false
    .vgpr_count:     9
    .vgpr_spill_count: 0
    .wavefront_size: 64
  - .args:
      - .actual_access:  read_only
        .address_space:  global
        .offset:         0
        .size:           8
        .value_kind:     global_buffer
      - .actual_access:  write_only
        .address_space:  global
        .offset:         8
        .size:           8
        .value_kind:     global_buffer
      - .actual_access:  read_only
        .address_space:  global
        .offset:         16
        .size:           8
        .value_kind:     global_buffer
      - .actual_access:  read_only
        .address_space:  global
        .offset:         24
        .size:           8
        .value_kind:     global_buffer
      - .offset:         32
        .size:           4
        .value_kind:     by_value
      - .offset:         36
        .size:           4
        .value_kind:     by_value
      - .offset:         40
        .size:           8
        .value_kind:     by_value
      - .offset:         48
        .size:           8
        .value_kind:     by_value
      - .offset:         56
        .size:           8
        .value_kind:     by_value
      - .offset:         64
        .size:           8
        .value_kind:     by_value
      - .actual_access:  read_only
        .address_space:  global
        .offset:         72
        .size:           8
        .value_kind:     global_buffer
      - .actual_access:  read_only
        .address_space:  global
        .offset:         80
        .size:           8
        .value_kind:     global_buffer
      - .offset:         88
        .size:           4
        .value_kind:     hidden_block_count_x
      - .offset:         92
        .size:           4
        .value_kind:     hidden_block_count_y
      - .offset:         96
        .size:           4
        .value_kind:     hidden_block_count_z
      - .offset:         100
        .size:           2
        .value_kind:     hidden_group_size_x
      - .offset:         102
        .size:           2
        .value_kind:     hidden_group_size_y
      - .offset:         104
        .size:           2
        .value_kind:     hidden_group_size_z
      - .offset:         106
        .size:           2
        .value_kind:     hidden_remainder_x
      - .offset:         108
        .size:           2
        .value_kind:     hidden_remainder_y
      - .offset:         110
        .size:           2
        .value_kind:     hidden_remainder_z
      - .offset:         128
        .size:           8
        .value_kind:     hidden_global_offset_x
      - .offset:         136
        .size:           8
        .value_kind:     hidden_global_offset_y
      - .offset:         144
        .size:           8
        .value_kind:     hidden_global_offset_z
      - .offset:         152
        .size:           2
        .value_kind:     hidden_grid_dims
    .group_segment_fixed_size: 0
    .kernarg_segment_align: 8
    .kernarg_segment_size: 344
    .language:       OpenCL C
    .language_version:
      - 2
      - 0
    .max_flat_workgroup_size: 1024
    .name:           _ZN4vllm30gather_and_maybe_dequant_cacheI14__hip_bfloat16S1_LNS_18Fp8KVCacheDataTypeE0EEEvPKT0_PT_PKiS9_iillllPKfS9_
    .private_segment_fixed_size: 0
    .sgpr_count:     42
    .sgpr_spill_count: 0
    .symbol:         _ZN4vllm30gather_and_maybe_dequant_cacheI14__hip_bfloat16S1_LNS_18Fp8KVCacheDataTypeE0EEEvPKT0_PT_PKiS9_iillllPKfS9_.kd
    .uniform_work_group_size: 1
    .uses_dynamic_stack: false
    .vgpr_count:     9
    .vgpr_spill_count: 0
    .wavefront_size: 64
  - .args:
      - .actual_access:  read_only
        .address_space:  global
        .offset:         0
        .size:           8
        .value_kind:     global_buffer
      - .actual_access:  write_only
        .address_space:  global
        .offset:         8
        .size:           8
        .value_kind:     global_buffer
      - .actual_access:  read_only
        .address_space:  global
        .offset:         16
        .size:           8
        .value_kind:     global_buffer
      - .actual_access:  read_only
        .address_space:  global
        .offset:         24
        .size:           8
        .value_kind:     global_buffer
      - .offset:         32
        .size:           4
        .value_kind:     by_value
      - .offset:         36
        .size:           4
        .value_kind:     by_value
      - .offset:         40
        .size:           8
        .value_kind:     by_value
      - .offset:         48
        .size:           8
        .value_kind:     by_value
      - .offset:         56
        .size:           8
        .value_kind:     by_value
      - .offset:         64
        .size:           8
        .value_kind:     by_value
      - .actual_access:  read_only
        .address_space:  global
        .offset:         72
        .size:           8
        .value_kind:     global_buffer
      - .actual_access:  read_only
        .address_space:  global
        .offset:         80
        .size:           8
        .value_kind:     global_buffer
      - .offset:         88
        .size:           4
        .value_kind:     hidden_block_count_x
      - .offset:         92
        .size:           4
        .value_kind:     hidden_block_count_y
      - .offset:         96
        .size:           4
        .value_kind:     hidden_block_count_z
      - .offset:         100
        .size:           2
        .value_kind:     hidden_group_size_x
      - .offset:         102
        .size:           2
        .value_kind:     hidden_group_size_y
      - .offset:         104
        .size:           2
        .value_kind:     hidden_group_size_z
      - .offset:         106
        .size:           2
        .value_kind:     hidden_remainder_x
      - .offset:         108
        .size:           2
        .value_kind:     hidden_remainder_y
      - .offset:         110
        .size:           2
        .value_kind:     hidden_remainder_z
      - .offset:         128
        .size:           8
        .value_kind:     hidden_global_offset_x
      - .offset:         136
        .size:           8
        .value_kind:     hidden_global_offset_y
      - .offset:         144
        .size:           8
        .value_kind:     hidden_global_offset_z
      - .offset:         152
        .size:           2
        .value_kind:     hidden_grid_dims
    .group_segment_fixed_size: 0
    .kernarg_segment_align: 8
    .kernarg_segment_size: 344
    .language:       OpenCL C
    .language_version:
      - 2
      - 0
    .max_flat_workgroup_size: 1024
    .name:           _ZN4vllm30gather_and_maybe_dequant_cacheIfhLNS_18Fp8KVCacheDataTypeE1EEEvPKT0_PT_PKiS8_iillllPKfS8_
    .private_segment_fixed_size: 0
    .sgpr_count:     51
    .sgpr_spill_count: 0
    .symbol:         _ZN4vllm30gather_and_maybe_dequant_cacheIfhLNS_18Fp8KVCacheDataTypeE1EEEvPKT0_PT_PKiS8_iillllPKfS8_.kd
    .uniform_work_group_size: 1
    .uses_dynamic_stack: false
    .vgpr_count:     14
    .vgpr_spill_count: 0
    .wavefront_size: 64
  - .args:
      - .actual_access:  read_only
        .address_space:  global
        .offset:         0
        .size:           8
        .value_kind:     global_buffer
      - .actual_access:  write_only
        .address_space:  global
        .offset:         8
        .size:           8
        .value_kind:     global_buffer
      - .actual_access:  read_only
        .address_space:  global
        .offset:         16
        .size:           8
        .value_kind:     global_buffer
      - .actual_access:  read_only
        .address_space:  global
        .offset:         24
        .size:           8
        .value_kind:     global_buffer
      - .offset:         32
        .size:           4
        .value_kind:     by_value
      - .offset:         36
        .size:           4
        .value_kind:     by_value
      - .offset:         40
        .size:           8
        .value_kind:     by_value
      - .offset:         48
        .size:           8
        .value_kind:     by_value
      - .offset:         56
        .size:           8
        .value_kind:     by_value
      - .offset:         64
        .size:           8
        .value_kind:     by_value
      - .actual_access:  read_only
        .address_space:  global
        .offset:         72
        .size:           8
        .value_kind:     global_buffer
      - .actual_access:  read_only
        .address_space:  global
        .offset:         80
        .size:           8
        .value_kind:     global_buffer
      - .offset:         88
        .size:           4
        .value_kind:     hidden_block_count_x
      - .offset:         92
        .size:           4
        .value_kind:     hidden_block_count_y
      - .offset:         96
        .size:           4
        .value_kind:     hidden_block_count_z
      - .offset:         100
        .size:           2
        .value_kind:     hidden_group_size_x
      - .offset:         102
        .size:           2
        .value_kind:     hidden_group_size_y
      - .offset:         104
        .size:           2
        .value_kind:     hidden_group_size_z
      - .offset:         106
        .size:           2
        .value_kind:     hidden_remainder_x
      - .offset:         108
        .size:           2
        .value_kind:     hidden_remainder_y
      - .offset:         110
        .size:           2
        .value_kind:     hidden_remainder_z
      - .offset:         128
        .size:           8
        .value_kind:     hidden_global_offset_x
      - .offset:         136
        .size:           8
        .value_kind:     hidden_global_offset_y
      - .offset:         144
        .size:           8
        .value_kind:     hidden_global_offset_z
      - .offset:         152
        .size:           2
        .value_kind:     hidden_grid_dims
    .group_segment_fixed_size: 0
    .kernarg_segment_align: 8
    .kernarg_segment_size: 344
    .language:       OpenCL C
    .language_version:
      - 2
      - 0
    .max_flat_workgroup_size: 1024
    .name:           _ZN4vllm30gather_and_maybe_dequant_cacheIthLNS_18Fp8KVCacheDataTypeE1EEEvPKT0_PT_PKiS8_iillllPKfS8_
    .private_segment_fixed_size: 0
    .sgpr_count:     52
    .sgpr_spill_count: 0
    .symbol:         _ZN4vllm30gather_and_maybe_dequant_cacheIthLNS_18Fp8KVCacheDataTypeE1EEEvPKT0_PT_PKiS8_iillllPKfS8_.kd
    .uniform_work_group_size: 1
    .uses_dynamic_stack: false
    .vgpr_count:     13
    .vgpr_spill_count: 0
    .wavefront_size: 64
  - .args:
      - .actual_access:  read_only
        .address_space:  global
        .offset:         0
        .size:           8
        .value_kind:     global_buffer
      - .actual_access:  write_only
        .address_space:  global
        .offset:         8
        .size:           8
        .value_kind:     global_buffer
      - .actual_access:  read_only
        .address_space:  global
        .offset:         16
        .size:           8
        .value_kind:     global_buffer
      - .actual_access:  read_only
        .address_space:  global
        .offset:         24
        .size:           8
        .value_kind:     global_buffer
      - .offset:         32
        .size:           4
        .value_kind:     by_value
      - .offset:         36
        .size:           4
        .value_kind:     by_value
      - .offset:         40
        .size:           8
        .value_kind:     by_value
      - .offset:         48
        .size:           8
        .value_kind:     by_value
      - .offset:         56
        .size:           8
        .value_kind:     by_value
      - .offset:         64
        .size:           8
        .value_kind:     by_value
      - .actual_access:  read_only
        .address_space:  global
        .offset:         72
        .size:           8
        .value_kind:     global_buffer
      - .actual_access:  read_only
        .address_space:  global
        .offset:         80
        .size:           8
        .value_kind:     global_buffer
      - .offset:         88
        .size:           4
        .value_kind:     hidden_block_count_x
      - .offset:         92
        .size:           4
        .value_kind:     hidden_block_count_y
      - .offset:         96
        .size:           4
        .value_kind:     hidden_block_count_z
      - .offset:         100
        .size:           2
        .value_kind:     hidden_group_size_x
      - .offset:         102
        .size:           2
        .value_kind:     hidden_group_size_y
      - .offset:         104
        .size:           2
        .value_kind:     hidden_group_size_z
      - .offset:         106
        .size:           2
        .value_kind:     hidden_remainder_x
      - .offset:         108
        .size:           2
        .value_kind:     hidden_remainder_y
      - .offset:         110
        .size:           2
        .value_kind:     hidden_remainder_z
      - .offset:         128
        .size:           8
        .value_kind:     hidden_global_offset_x
      - .offset:         136
        .size:           8
        .value_kind:     hidden_global_offset_y
      - .offset:         144
        .size:           8
        .value_kind:     hidden_global_offset_z
      - .offset:         152
        .size:           2
        .value_kind:     hidden_grid_dims
    .group_segment_fixed_size: 0
    .kernarg_segment_align: 8
    .kernarg_segment_size: 344
    .language:       OpenCL C
    .language_version:
      - 2
      - 0
    .max_flat_workgroup_size: 1024
    .name:           _ZN4vllm30gather_and_maybe_dequant_cacheI14__hip_bfloat16hLNS_18Fp8KVCacheDataTypeE1EEEvPKT0_PT_PKiS9_iillllPKfS9_
    .private_segment_fixed_size: 0
    .sgpr_count:     52
    .sgpr_spill_count: 0
    .symbol:         _ZN4vllm30gather_and_maybe_dequant_cacheI14__hip_bfloat16hLNS_18Fp8KVCacheDataTypeE1EEEvPKT0_PT_PKiS9_iillllPKfS9_.kd
    .uniform_work_group_size: 1
    .uses_dynamic_stack: false
    .vgpr_count:     14
    .vgpr_spill_count: 0
    .wavefront_size: 64
  - .args:
      - .actual_access:  read_only
        .address_space:  global
        .offset:         0
        .size:           8
        .value_kind:     global_buffer
      - .actual_access:  write_only
        .address_space:  global
        .offset:         8
        .size:           8
        .value_kind:     global_buffer
      - .actual_access:  read_only
        .address_space:  global
        .offset:         16
        .size:           8
        .value_kind:     global_buffer
      - .actual_access:  read_only
        .address_space:  global
        .offset:         24
        .size:           8
        .value_kind:     global_buffer
      - .offset:         32
        .size:           4
        .value_kind:     by_value
      - .offset:         36
        .size:           4
        .value_kind:     by_value
      - .offset:         40
        .size:           8
        .value_kind:     by_value
      - .offset:         48
        .size:           8
        .value_kind:     by_value
      - .offset:         56
        .size:           8
        .value_kind:     by_value
      - .offset:         64
        .size:           8
        .value_kind:     by_value
      - .actual_access:  read_only
        .address_space:  global
        .offset:         72
        .size:           8
        .value_kind:     global_buffer
      - .offset:         80
        .size:           4
        .value_kind:     hidden_block_count_x
      - .offset:         84
        .size:           4
        .value_kind:     hidden_block_count_y
      - .offset:         88
        .size:           4
        .value_kind:     hidden_block_count_z
      - .offset:         92
        .size:           2
        .value_kind:     hidden_group_size_x
      - .offset:         94
        .size:           2
        .value_kind:     hidden_group_size_y
      - .offset:         96
        .size:           2
        .value_kind:     hidden_group_size_z
      - .offset:         98
        .size:           2
        .value_kind:     hidden_remainder_x
      - .offset:         100
        .size:           2
        .value_kind:     hidden_remainder_y
      - .offset:         102
        .size:           2
        .value_kind:     hidden_remainder_z
      - .offset:         120
        .size:           8
        .value_kind:     hidden_global_offset_x
      - .offset:         128
        .size:           8
        .value_kind:     hidden_global_offset_y
      - .offset:         136
        .size:           8
        .value_kind:     hidden_global_offset_z
      - .offset:         144
        .size:           2
        .value_kind:     hidden_grid_dims
    .group_segment_fixed_size: 0
    .kernarg_segment_align: 8
    .kernarg_segment_size: 336
    .language:       OpenCL C
    .language_version:
      - 2
      - 0
    .max_flat_workgroup_size: 1024
    .name:           _ZN4vllm15cp_gather_cacheIjEEvPKT_PS1_PKiS6_iillllS6_
    .private_segment_fixed_size: 0
    .sgpr_count:     34
    .sgpr_spill_count: 0
    .symbol:         _ZN4vllm15cp_gather_cacheIjEEvPKT_PS1_PKiS6_iillllS6_.kd
    .uniform_work_group_size: 1
    .uses_dynamic_stack: false
    .vgpr_count:     9
    .vgpr_spill_count: 0
    .wavefront_size: 64
  - .args:
      - .actual_access:  read_only
        .address_space:  global
        .offset:         0
        .size:           8
        .value_kind:     global_buffer
      - .actual_access:  write_only
        .address_space:  global
        .offset:         8
        .size:           8
        .value_kind:     global_buffer
      - .actual_access:  read_only
        .address_space:  global
        .offset:         16
        .size:           8
        .value_kind:     global_buffer
      - .actual_access:  read_only
        .address_space:  global
        .offset:         24
        .size:           8
        .value_kind:     global_buffer
      - .offset:         32
        .size:           4
        .value_kind:     by_value
      - .offset:         36
        .size:           4
        .value_kind:     by_value
      - .offset:         40
        .size:           8
        .value_kind:     by_value
      - .offset:         48
        .size:           8
        .value_kind:     by_value
      - .offset:         56
        .size:           8
        .value_kind:     by_value
      - .offset:         64
        .size:           8
        .value_kind:     by_value
      - .actual_access:  read_only
        .address_space:  global
        .offset:         72
        .size:           8
        .value_kind:     global_buffer
      - .offset:         80
        .size:           4
        .value_kind:     hidden_block_count_x
      - .offset:         84
        .size:           4
        .value_kind:     hidden_block_count_y
      - .offset:         88
        .size:           4
        .value_kind:     hidden_block_count_z
      - .offset:         92
        .size:           2
        .value_kind:     hidden_group_size_x
      - .offset:         94
        .size:           2
        .value_kind:     hidden_group_size_y
      - .offset:         96
        .size:           2
        .value_kind:     hidden_group_size_z
      - .offset:         98
        .size:           2
        .value_kind:     hidden_remainder_x
      - .offset:         100
        .size:           2
        .value_kind:     hidden_remainder_y
      - .offset:         102
        .size:           2
        .value_kind:     hidden_remainder_z
      - .offset:         120
        .size:           8
        .value_kind:     hidden_global_offset_x
      - .offset:         128
        .size:           8
        .value_kind:     hidden_global_offset_y
      - .offset:         136
        .size:           8
        .value_kind:     hidden_global_offset_z
      - .offset:         144
        .size:           2
        .value_kind:     hidden_grid_dims
    .group_segment_fixed_size: 0
    .kernarg_segment_align: 8
    .kernarg_segment_size: 336
    .language:       OpenCL C
    .language_version:
      - 2
      - 0
    .max_flat_workgroup_size: 1024
    .name:           _ZN4vllm15cp_gather_cacheItEEvPKT_PS1_PKiS6_iillllS6_
    .private_segment_fixed_size: 0
    .sgpr_count:     34
    .sgpr_spill_count: 0
    .symbol:         _ZN4vllm15cp_gather_cacheItEEvPKT_PS1_PKiS6_iillllS6_.kd
    .uniform_work_group_size: 1
    .uses_dynamic_stack: false
    .vgpr_count:     9
    .vgpr_spill_count: 0
    .wavefront_size: 64
  - .args:
      - .actual_access:  read_only
        .address_space:  global
        .offset:         0
        .size:           8
        .value_kind:     global_buffer
      - .actual_access:  write_only
        .address_space:  global
        .offset:         8
        .size:           8
        .value_kind:     global_buffer
      - .actual_access:  read_only
        .address_space:  global
        .offset:         16
        .size:           8
        .value_kind:     global_buffer
      - .actual_access:  read_only
        .address_space:  global
        .offset:         24
        .size:           8
        .value_kind:     global_buffer
      - .offset:         32
        .size:           4
        .value_kind:     by_value
      - .offset:         36
        .size:           4
        .value_kind:     by_value
      - .offset:         40
        .size:           8
        .value_kind:     by_value
      - .offset:         48
        .size:           8
        .value_kind:     by_value
      - .offset:         56
        .size:           8
        .value_kind:     by_value
      - .offset:         64
        .size:           8
        .value_kind:     by_value
      - .actual_access:  read_only
        .address_space:  global
        .offset:         72
        .size:           8
        .value_kind:     global_buffer
      - .offset:         80
        .size:           4
        .value_kind:     hidden_block_count_x
      - .offset:         84
        .size:           4
        .value_kind:     hidden_block_count_y
      - .offset:         88
        .size:           4
        .value_kind:     hidden_block_count_z
      - .offset:         92
        .size:           2
        .value_kind:     hidden_group_size_x
      - .offset:         94
        .size:           2
        .value_kind:     hidden_group_size_y
      - .offset:         96
        .size:           2
        .value_kind:     hidden_group_size_z
      - .offset:         98
        .size:           2
        .value_kind:     hidden_remainder_x
      - .offset:         100
        .size:           2
        .value_kind:     hidden_remainder_y
      - .offset:         102
        .size:           2
        .value_kind:     hidden_remainder_z
      - .offset:         120
        .size:           8
        .value_kind:     hidden_global_offset_x
      - .offset:         128
        .size:           8
        .value_kind:     hidden_global_offset_y
      - .offset:         136
        .size:           8
        .value_kind:     hidden_global_offset_z
      - .offset:         144
        .size:           2
        .value_kind:     hidden_grid_dims
    .group_segment_fixed_size: 0
    .kernarg_segment_align: 8
    .kernarg_segment_size: 336
    .language:       OpenCL C
    .language_version:
      - 2
      - 0
    .max_flat_workgroup_size: 1024
    .name:           _ZN4vllm15cp_gather_cacheIhEEvPKT_PS1_PKiS6_iillllS6_
    .private_segment_fixed_size: 0
    .sgpr_count:     34
    .sgpr_spill_count: 0
    .symbol:         _ZN4vllm15cp_gather_cacheIhEEvPKT_PS1_PKiS6_iillllS6_.kd
    .uniform_work_group_size: 1
    .uses_dynamic_stack: false
    .vgpr_count:     8
    .vgpr_spill_count: 0
    .wavefront_size: 64
amdhsa.target:   amdgcn-amd-amdhsa--gfx906
amdhsa.version:
  - 1
  - 2
...

	.end_amdgpu_metadata
